;; amdgpu-corpus repo=ROCm/rocFFT kind=compiled arch=gfx1030 opt=O3
	.text
	.amdgcn_target "amdgcn-amd-amdhsa--gfx1030"
	.amdhsa_code_object_version 6
	.protected	fft_rtc_fwd_len1701_factors_3_3_3_3_3_7_wgs_63_tpt_63_halfLds_half_ip_CI_unitstride_sbrr_dirReg ; -- Begin function fft_rtc_fwd_len1701_factors_3_3_3_3_3_7_wgs_63_tpt_63_halfLds_half_ip_CI_unitstride_sbrr_dirReg
	.globl	fft_rtc_fwd_len1701_factors_3_3_3_3_3_7_wgs_63_tpt_63_halfLds_half_ip_CI_unitstride_sbrr_dirReg
	.p2align	8
	.type	fft_rtc_fwd_len1701_factors_3_3_3_3_3_7_wgs_63_tpt_63_halfLds_half_ip_CI_unitstride_sbrr_dirReg,@function
fft_rtc_fwd_len1701_factors_3_3_3_3_3_7_wgs_63_tpt_63_halfLds_half_ip_CI_unitstride_sbrr_dirReg: ; @fft_rtc_fwd_len1701_factors_3_3_3_3_3_7_wgs_63_tpt_63_halfLds_half_ip_CI_unitstride_sbrr_dirReg
; %bb.0:
	s_clause 0x2
	s_load_dwordx4 s[8:11], s[4:5], 0x0
	s_load_dwordx2 s[2:3], s[4:5], 0x50
	s_load_dwordx2 s[12:13], s[4:5], 0x18
	v_mul_u32_u24_e32 v1, 0x411, v0
	v_mov_b32_e32 v3, 0
	v_add_nc_u32_sdwa v5, s6, v1 dst_sel:DWORD dst_unused:UNUSED_PAD src0_sel:DWORD src1_sel:WORD_1
	v_mov_b32_e32 v1, 0
	v_mov_b32_e32 v6, v3
	v_mov_b32_e32 v2, 0
	s_waitcnt lgkmcnt(0)
	v_cmp_lt_u64_e64 s0, s[10:11], 2
	s_and_b32 vcc_lo, exec_lo, s0
	s_cbranch_vccnz .LBB0_8
; %bb.1:
	s_load_dwordx2 s[0:1], s[4:5], 0x10
	v_mov_b32_e32 v1, 0
	s_add_u32 s6, s12, 8
	v_mov_b32_e32 v2, 0
	s_addc_u32 s7, s13, 0
	s_mov_b64 s[16:17], 1
	s_waitcnt lgkmcnt(0)
	s_add_u32 s14, s0, 8
	s_addc_u32 s15, s1, 0
.LBB0_2:                                ; =>This Inner Loop Header: Depth=1
	s_load_dwordx2 s[18:19], s[14:15], 0x0
                                        ; implicit-def: $vgpr7_vgpr8
	s_mov_b32 s0, exec_lo
	s_waitcnt lgkmcnt(0)
	v_or_b32_e32 v4, s19, v6
	v_cmpx_ne_u64_e32 0, v[3:4]
	s_xor_b32 s1, exec_lo, s0
	s_cbranch_execz .LBB0_4
; %bb.3:                                ;   in Loop: Header=BB0_2 Depth=1
	v_cvt_f32_u32_e32 v4, s18
	v_cvt_f32_u32_e32 v7, s19
	s_sub_u32 s0, 0, s18
	s_subb_u32 s20, 0, s19
	v_fmac_f32_e32 v4, 0x4f800000, v7
	v_rcp_f32_e32 v4, v4
	v_mul_f32_e32 v4, 0x5f7ffffc, v4
	v_mul_f32_e32 v7, 0x2f800000, v4
	v_trunc_f32_e32 v7, v7
	v_fmac_f32_e32 v4, 0xcf800000, v7
	v_cvt_u32_f32_e32 v7, v7
	v_cvt_u32_f32_e32 v4, v4
	v_mul_lo_u32 v8, s0, v7
	v_mul_hi_u32 v9, s0, v4
	v_mul_lo_u32 v10, s20, v4
	v_add_nc_u32_e32 v8, v9, v8
	v_mul_lo_u32 v9, s0, v4
	v_add_nc_u32_e32 v8, v8, v10
	v_mul_hi_u32 v10, v4, v9
	v_mul_lo_u32 v11, v4, v8
	v_mul_hi_u32 v12, v4, v8
	v_mul_hi_u32 v13, v7, v9
	v_mul_lo_u32 v9, v7, v9
	v_mul_hi_u32 v14, v7, v8
	v_mul_lo_u32 v8, v7, v8
	v_add_co_u32 v10, vcc_lo, v10, v11
	v_add_co_ci_u32_e32 v11, vcc_lo, 0, v12, vcc_lo
	v_add_co_u32 v9, vcc_lo, v10, v9
	v_add_co_ci_u32_e32 v9, vcc_lo, v11, v13, vcc_lo
	v_add_co_ci_u32_e32 v10, vcc_lo, 0, v14, vcc_lo
	v_add_co_u32 v8, vcc_lo, v9, v8
	v_add_co_ci_u32_e32 v9, vcc_lo, 0, v10, vcc_lo
	v_add_co_u32 v4, vcc_lo, v4, v8
	v_add_co_ci_u32_e32 v7, vcc_lo, v7, v9, vcc_lo
	v_mul_hi_u32 v8, s0, v4
	v_mul_lo_u32 v10, s20, v4
	v_mul_lo_u32 v9, s0, v7
	v_add_nc_u32_e32 v8, v8, v9
	v_mul_lo_u32 v9, s0, v4
	v_add_nc_u32_e32 v8, v8, v10
	v_mul_hi_u32 v10, v4, v9
	v_mul_lo_u32 v11, v4, v8
	v_mul_hi_u32 v12, v4, v8
	v_mul_hi_u32 v13, v7, v9
	v_mul_lo_u32 v9, v7, v9
	v_mul_hi_u32 v14, v7, v8
	v_mul_lo_u32 v8, v7, v8
	v_add_co_u32 v10, vcc_lo, v10, v11
	v_add_co_ci_u32_e32 v11, vcc_lo, 0, v12, vcc_lo
	v_add_co_u32 v9, vcc_lo, v10, v9
	v_add_co_ci_u32_e32 v9, vcc_lo, v11, v13, vcc_lo
	v_add_co_ci_u32_e32 v10, vcc_lo, 0, v14, vcc_lo
	v_add_co_u32 v8, vcc_lo, v9, v8
	v_add_co_ci_u32_e32 v9, vcc_lo, 0, v10, vcc_lo
	v_add_co_u32 v4, vcc_lo, v4, v8
	v_add_co_ci_u32_e32 v11, vcc_lo, v7, v9, vcc_lo
	v_mul_hi_u32 v13, v5, v4
	v_mad_u64_u32 v[9:10], null, v6, v4, 0
	v_mad_u64_u32 v[7:8], null, v5, v11, 0
	;; [unrolled: 1-line block ×3, first 2 shown]
	v_add_co_u32 v4, vcc_lo, v13, v7
	v_add_co_ci_u32_e32 v7, vcc_lo, 0, v8, vcc_lo
	v_add_co_u32 v4, vcc_lo, v4, v9
	v_add_co_ci_u32_e32 v4, vcc_lo, v7, v10, vcc_lo
	v_add_co_ci_u32_e32 v7, vcc_lo, 0, v12, vcc_lo
	v_add_co_u32 v4, vcc_lo, v4, v11
	v_add_co_ci_u32_e32 v9, vcc_lo, 0, v7, vcc_lo
	v_mul_lo_u32 v10, s19, v4
	v_mad_u64_u32 v[7:8], null, s18, v4, 0
	v_mul_lo_u32 v11, s18, v9
	v_sub_co_u32 v7, vcc_lo, v5, v7
	v_add3_u32 v8, v8, v11, v10
	v_sub_nc_u32_e32 v10, v6, v8
	v_subrev_co_ci_u32_e64 v10, s0, s19, v10, vcc_lo
	v_add_co_u32 v11, s0, v4, 2
	v_add_co_ci_u32_e64 v12, s0, 0, v9, s0
	v_sub_co_u32 v13, s0, v7, s18
	v_sub_co_ci_u32_e32 v8, vcc_lo, v6, v8, vcc_lo
	v_subrev_co_ci_u32_e64 v10, s0, 0, v10, s0
	v_cmp_le_u32_e32 vcc_lo, s18, v13
	v_cmp_eq_u32_e64 s0, s19, v8
	v_cndmask_b32_e64 v13, 0, -1, vcc_lo
	v_cmp_le_u32_e32 vcc_lo, s19, v10
	v_cndmask_b32_e64 v14, 0, -1, vcc_lo
	v_cmp_le_u32_e32 vcc_lo, s18, v7
	;; [unrolled: 2-line block ×3, first 2 shown]
	v_cndmask_b32_e64 v15, 0, -1, vcc_lo
	v_cmp_eq_u32_e32 vcc_lo, s19, v10
	v_cndmask_b32_e64 v7, v15, v7, s0
	v_cndmask_b32_e32 v10, v14, v13, vcc_lo
	v_add_co_u32 v13, vcc_lo, v4, 1
	v_add_co_ci_u32_e32 v14, vcc_lo, 0, v9, vcc_lo
	v_cmp_ne_u32_e32 vcc_lo, 0, v10
	v_cndmask_b32_e32 v8, v14, v12, vcc_lo
	v_cndmask_b32_e32 v10, v13, v11, vcc_lo
	v_cmp_ne_u32_e32 vcc_lo, 0, v7
	v_cndmask_b32_e32 v8, v9, v8, vcc_lo
	v_cndmask_b32_e32 v7, v4, v10, vcc_lo
.LBB0_4:                                ;   in Loop: Header=BB0_2 Depth=1
	s_andn2_saveexec_b32 s0, s1
	s_cbranch_execz .LBB0_6
; %bb.5:                                ;   in Loop: Header=BB0_2 Depth=1
	v_cvt_f32_u32_e32 v4, s18
	s_sub_i32 s1, 0, s18
	v_rcp_iflag_f32_e32 v4, v4
	v_mul_f32_e32 v4, 0x4f7ffffe, v4
	v_cvt_u32_f32_e32 v4, v4
	v_mul_lo_u32 v7, s1, v4
	v_mul_hi_u32 v7, v4, v7
	v_add_nc_u32_e32 v4, v4, v7
	v_mul_hi_u32 v4, v5, v4
	v_mul_lo_u32 v7, v4, s18
	v_add_nc_u32_e32 v8, 1, v4
	v_sub_nc_u32_e32 v7, v5, v7
	v_subrev_nc_u32_e32 v9, s18, v7
	v_cmp_le_u32_e32 vcc_lo, s18, v7
	v_cndmask_b32_e32 v7, v7, v9, vcc_lo
	v_cndmask_b32_e32 v4, v4, v8, vcc_lo
	v_cmp_le_u32_e32 vcc_lo, s18, v7
	v_add_nc_u32_e32 v8, 1, v4
	v_cndmask_b32_e32 v7, v4, v8, vcc_lo
	v_mov_b32_e32 v8, v3
.LBB0_6:                                ;   in Loop: Header=BB0_2 Depth=1
	s_or_b32 exec_lo, exec_lo, s0
	s_load_dwordx2 s[0:1], s[6:7], 0x0
	v_mul_lo_u32 v4, v8, s18
	v_mul_lo_u32 v11, v7, s19
	v_mad_u64_u32 v[9:10], null, v7, s18, 0
	s_add_u32 s16, s16, 1
	s_addc_u32 s17, s17, 0
	s_add_u32 s6, s6, 8
	s_addc_u32 s7, s7, 0
	;; [unrolled: 2-line block ×3, first 2 shown]
	v_add3_u32 v4, v10, v11, v4
	v_sub_co_u32 v5, vcc_lo, v5, v9
	v_sub_co_ci_u32_e32 v4, vcc_lo, v6, v4, vcc_lo
	s_waitcnt lgkmcnt(0)
	v_mul_lo_u32 v6, s1, v5
	v_mul_lo_u32 v4, s0, v4
	v_mad_u64_u32 v[1:2], null, s0, v5, v[1:2]
	v_cmp_ge_u64_e64 s0, s[16:17], s[10:11]
	s_and_b32 vcc_lo, exec_lo, s0
	v_add3_u32 v2, v6, v2, v4
	s_cbranch_vccnz .LBB0_9
; %bb.7:                                ;   in Loop: Header=BB0_2 Depth=1
	v_mov_b32_e32 v5, v7
	v_mov_b32_e32 v6, v8
	s_branch .LBB0_2
.LBB0_8:
	v_mov_b32_e32 v8, v6
	v_mov_b32_e32 v7, v5
.LBB0_9:
	s_lshl_b64 s[0:1], s[10:11], 3
	v_mul_hi_u32 v5, 0x4104105, v0
	s_add_u32 s0, s12, s0
	s_addc_u32 s1, s13, s1
                                        ; implicit-def: $vgpr55
                                        ; implicit-def: $vgpr34
                                        ; implicit-def: $vgpr54
                                        ; implicit-def: $vgpr50
                                        ; implicit-def: $vgpr53
                                        ; implicit-def: $vgpr46
                                        ; implicit-def: $vgpr49
                                        ; implicit-def: $vgpr43
                                        ; implicit-def: $vgpr48
                                        ; implicit-def: $vgpr42
                                        ; implicit-def: $vgpr6
                                        ; implicit-def: $vgpr45
                                        ; implicit-def: $vgpr37
                                        ; implicit-def: $vgpr41
                                        ; implicit-def: $vgpr32
                                        ; implicit-def: $vgpr9
                                        ; implicit-def: $vgpr13
                                        ; implicit-def: $vgpr38
                                        ; implicit-def: $vgpr26
                                        ; implicit-def: $vgpr10
                                        ; implicit-def: $vgpr16
                                        ; implicit-def: $vgpr17
                                        ; implicit-def: $vgpr31
                                        ; implicit-def: $vgpr22
                                        ; implicit-def: $vgpr27
                                        ; implicit-def: $vgpr23
                                        ; implicit-def: $vgpr25
                                        ; implicit-def: $vgpr20
                                        ; implicit-def: $vgpr24
                                        ; implicit-def: $vgpr21
                                        ; implicit-def: $vgpr19
                                        ; implicit-def: $vgpr35
                                        ; implicit-def: $vgpr29
                                        ; implicit-def: $vgpr36
                                        ; implicit-def: $vgpr30
                                        ; implicit-def: $vgpr40
                                        ; implicit-def: $vgpr33
                                        ; implicit-def: $vgpr47
                                        ; implicit-def: $vgpr39
                                        ; implicit-def: $vgpr11
                                        ; implicit-def: $vgpr18
                                        ; implicit-def: $vgpr51
                                        ; implicit-def: $vgpr44
                                        ; implicit-def: $vgpr12
                                        ; implicit-def: $vgpr15
                                        ; implicit-def: $vgpr56
                                        ; implicit-def: $vgpr52
                                        ; implicit-def: $vgpr28
                                        ; implicit-def: $vgpr14
	s_load_dwordx2 s[0:1], s[0:1], 0x0
	s_load_dwordx2 s[4:5], s[4:5], 0x20
	s_waitcnt lgkmcnt(0)
	v_mul_lo_u32 v3, s0, v8
	v_mul_lo_u32 v4, s1, v7
	v_mad_u64_u32 v[1:2], null, s0, v7, v[1:2]
	v_cmp_gt_u64_e32 vcc_lo, s[4:5], v[7:8]
                                        ; implicit-def: $vgpr7
                                        ; implicit-def: $vgpr8
	v_add3_u32 v2, v4, v2, v3
	v_mul_u32_u24_e32 v4, 63, v5
                                        ; implicit-def: $vgpr5
	v_lshlrev_b64 v[2:3], 2, v[1:2]
	v_sub_nc_u32_e32 v0, v0, v4
                                        ; implicit-def: $vgpr4
                                        ; implicit-def: $vgpr1
	s_and_saveexec_b32 s1, vcc_lo
	s_cbranch_execz .LBB0_11
; %bb.10:
	v_mov_b32_e32 v1, 0
	v_lshlrev_b64 v[4:5], 2, v[0:1]
	v_add_co_u32 v1, s0, s2, v2
	v_add_co_ci_u32_e64 v6, s0, s3, v3, s0
	v_add_co_u32 v7, s0, v1, v4
	v_add_co_ci_u32_e64 v8, s0, v6, v5, s0
	;; [unrolled: 2-line block ×5, first 2 shown]
	s_clause 0x1a
	global_load_dword v34, v[9:10], off offset:220
	global_load_dword v4, v[7:8], off
	global_load_dword v14, v[7:8], off offset:252
	global_load_dword v15, v[7:8], off offset:504
	;; [unrolled: 1-line block ×25, first 2 shown]
	s_waitcnt vmcnt(26)
	v_lshrrev_b32_e32 v55, 16, v34
	s_waitcnt vmcnt(25)
	v_lshrrev_b32_e32 v5, 16, v4
	;; [unrolled: 2-line block ×27, first 2 shown]
.LBB0_11:
	s_or_b32 exec_lo, exec_lo, s1
	v_add_f16_e32 v60, v55, v54
	v_add_f16_e32 v57, v34, v50
	v_add_f16_e32 v58, v4, v34
	v_sub_f16_e32 v59, v55, v54
	v_add_f16_e32 v55, v5, v55
	v_sub_f16_e32 v34, v34, v50
	v_fmac_f16_e32 v5, -0.5, v60
	v_fmac_f16_e32 v4, -0.5, v57
	v_add_f16_e32 v50, v58, v50
	v_add_f16_e32 v54, v55, v54
	;; [unrolled: 1-line block ×3, first 2 shown]
	v_fmamk_f16 v58, v34, 0xbaee, v5
	v_fmac_f16_e32 v5, 0x3aee, v34
	v_add_f16_e32 v34, v53, v56
	v_fmamk_f16 v57, v59, 0x3aee, v4
	v_fmac_f16_e32 v4, 0xbaee, v59
	v_add_f16_e32 v59, v46, v14
	v_fmac_f16_e32 v14, -0.5, v55
	v_sub_f16_e32 v55, v53, v56
	v_add_f16_e32 v53, v53, v28
	v_fmac_f16_e32 v28, -0.5, v34
	v_sub_f16_e32 v34, v46, v52
	v_add_f16_e32 v59, v52, v59
	v_fmamk_f16 v46, v55, 0x3aee, v14
	v_fmac_f16_e32 v14, 0xbaee, v55
	v_add_f16_e32 v52, v56, v53
	v_add_f16_e32 v53, v43, v42
	v_fmamk_f16 v55, v34, 0xbaee, v28
	v_fmac_f16_e32 v28, 0x3aee, v34
	v_add_f16_e32 v34, v49, v48
	v_add_f16_e32 v56, v43, v15
	v_fmac_f16_e32 v15, -0.5, v53
	v_sub_f16_e32 v53, v49, v48
	v_add_f16_e32 v49, v49, v12
	v_fmac_f16_e32 v12, -0.5, v34
	v_sub_f16_e32 v34, v43, v42
	v_add_f16_e32 v56, v42, v56
	v_fmamk_f16 v42, v53, 0x3aee, v15
	v_add_f16_e32 v43, v48, v49
	v_add_f16_e32 v48, v37, v44
	v_fmamk_f16 v49, v34, 0xbaee, v12
	v_fmac_f16_e32 v12, 0x3aee, v34
	v_add_f16_e32 v34, v45, v51
	v_fmac_f16_e32 v15, 0xbaee, v53
	v_add_f16_e32 v53, v6, v44
	v_fmac_f16_e32 v6, -0.5, v48
	v_sub_f16_e32 v48, v51, v45
	v_add_f16_e32 v51, v7, v51
	v_fmac_f16_e32 v7, -0.5, v34
	v_sub_f16_e32 v34, v44, v37
	v_add_f16_e32 v53, v37, v53
	v_fmamk_f16 v37, v48, 0x3aee, v6
	v_fmac_f16_e32 v6, 0xbaee, v48
	v_add_f16_e32 v44, v45, v51
	v_add_f16_e32 v45, v32, v39
	v_fmamk_f16 v48, v34, 0xbaee, v7
	v_add_f16_e32 v51, v39, v18
	v_fmac_f16_e32 v7, 0x3aee, v34
	v_add_f16_e32 v34, v41, v47
	v_fmac_f16_e32 v18, -0.5, v45
	v_sub_f16_e32 v45, v47, v41
	v_add_f16_e32 v51, v32, v51
	v_add_f16_e32 v47, v47, v11
	v_fmac_f16_e32 v11, -0.5, v34
	v_sub_f16_e32 v32, v39, v32
	v_fmamk_f16 v34, v45, 0x3aee, v18
	v_fmac_f16_e32 v18, 0xbaee, v45
	v_add_f16_e32 v39, v41, v47
	v_add_f16_e32 v41, v26, v33
	v_fmamk_f16 v45, v32, 0xbaee, v11
	v_fmac_f16_e32 v11, 0x3aee, v32
	v_add_f16_e32 v32, v38, v40
	v_add_f16_e32 v47, v13, v26
	v_fmac_f16_e32 v13, -0.5, v41
	v_sub_f16_e32 v41, v38, v40
	v_add_f16_e32 v38, v9, v38
	v_fmac_f16_e32 v9, -0.5, v32
	v_sub_f16_e32 v26, v26, v33
	v_add_f16_e32 v47, v47, v33
	v_fmamk_f16 v32, v41, 0x3aee, v13
	v_add_f16_e32 v33, v38, v40
	v_add_f16_e32 v38, v29, v30
	v_fmamk_f16 v40, v26, 0xbaee, v9
	v_fmac_f16_e32 v9, 0x3aee, v26
	v_add_f16_e32 v26, v35, v36
	v_fmac_f16_e32 v13, 0xbaee, v41
	v_add_f16_e32 v41, v16, v30
	v_fmac_f16_e32 v16, -0.5, v38
	v_sub_f16_e32 v38, v36, v35
	v_add_f16_e32 v36, v10, v36
	v_fmac_f16_e32 v10, -0.5, v26
	v_sub_f16_e32 v26, v30, v29
	v_add_f16_e32 v41, v29, v41
	v_fmamk_f16 v29, v38, 0x3aee, v16
	v_add_f16_e32 v30, v35, v36
	v_add_f16_e32 v35, v22, v23
	v_fmamk_f16 v36, v26, 0xbaee, v10
	v_fmac_f16_e32 v10, 0x3aee, v26
	v_add_f16_e32 v26, v31, v27
	v_fmac_f16_e32 v16, 0xbaee, v38
	v_add_f16_e32 v38, v17, v22
	v_fmac_f16_e32 v17, -0.5, v35
	v_sub_f16_e32 v35, v31, v27
	v_add_f16_e32 v31, v8, v31
	v_fmac_f16_e32 v8, -0.5, v26
	v_sub_f16_e32 v22, v22, v23
	v_add_f16_e32 v26, v20, v21
	v_mad_u32_u24 v60, v0, 6, 0
	v_add_f16_e32 v38, v38, v23
	v_fmamk_f16 v23, v35, 0x3aee, v17
	v_fmac_f16_e32 v17, 0xbaee, v35
	v_add_f16_e32 v31, v31, v27
	v_fmamk_f16 v35, v22, 0xbaee, v8
	v_add_f16_e32 v27, v20, v19
	v_fmac_f16_e32 v8, 0x3aee, v22
	v_add_f16_e32 v22, v25, v24
	v_fmac_f16_e32 v19, -0.5, v26
	v_sub_f16_e32 v26, v25, v24
	ds_write_b16 v60, v50
	ds_write_b16 v60, v57 offset:2
	ds_write_b16 v60, v4 offset:4
	;; [unrolled: 1-line block ×21, first 2 shown]
	v_lshlrev_b32_e32 v4, 1, v0
	v_add_f16_e32 v27, v21, v27
	v_add_f16_e32 v25, v25, v1
	v_fmac_f16_e32 v1, -0.5, v22
	v_sub_f16_e32 v20, v20, v21
	v_fmamk_f16 v21, v26, 0x3aee, v19
	v_fmac_f16_e32 v19, 0xbaee, v26
	v_add_nc_u32_e32 v6, 0, v4
	v_add_f16_e32 v61, v24, v25
	v_fmamk_f16 v62, v20, 0xbaee, v1
	v_fmac_f16_e32 v1, 0x3aee, v20
	ds_write_b16 v60, v23 offset:2648
	ds_write_b16 v60, v17 offset:2650
	;; [unrolled: 1-line block ×5, first 2 shown]
	s_waitcnt lgkmcnt(0)
	s_barrier
	buffer_gl0_inv
	ds_read_u16 v14, v6 offset:2520
	ds_read_u16 v59, v6 offset:2646
	;; [unrolled: 1-line block ×9, first 2 shown]
	ds_read_u16 v27, v6
	ds_read_u16 v26, v6 offset:126
	ds_read_u16 v25, v6 offset:252
	ds_read_u16 v24, v6 offset:378
	ds_read_u16 v23, v6 offset:504
	ds_read_u16 v22, v6 offset:630
	ds_read_u16 v20, v6 offset:756
	ds_read_u16 v19, v6 offset:882
	ds_read_u16 v70, v6 offset:2016
	ds_read_u16 v71, v6 offset:1260
	ds_read_u16 v72, v6 offset:1134
	ds_read_u16 v21, v6 offset:1008
	ds_read_u16 v73, v6 offset:2394
	ds_read_u16 v74, v6 offset:2268
	ds_read_u16 v75, v6 offset:2142
	ds_read_u16 v76, v6 offset:3024
	ds_read_u16 v77, v6 offset:3150
	ds_read_u16 v78, v6 offset:3276
	s_waitcnt lgkmcnt(0)
	s_barrier
	buffer_gl0_inv
	ds_write_b16 v60, v54
	ds_write_b16 v60, v58 offset:2
	ds_write_b16 v60, v5 offset:4
	;; [unrolled: 1-line block ×5, first 2 shown]
	v_and_b32_e32 v5, 0xff, v0
	ds_write_b16 v60, v43 offset:756
	ds_write_b16 v60, v49 offset:758
	;; [unrolled: 1-line block ×12, first 2 shown]
	v_add_nc_u32_e32 v11, 0xfc, v0
	v_mul_lo_u16 v12, 0xab, v5
	v_mov_b32_e32 v28, 0xaaab
	ds_write_b16 v60, v30 offset:2268
	ds_write_b16 v60, v36 offset:2270
	;; [unrolled: 1-line block ×4, first 2 shown]
	v_add_nc_u32_e32 v10, 0x13b, v0
	v_add_nc_u32_e32 v9, 0x17a, v0
	v_lshrrev_b16 v29, 9, v12
	v_mul_u32_u24_sdwa v12, v11, v28 dst_sel:DWORD dst_unused:UNUSED_PAD src0_sel:WORD_0 src1_sel:DWORD
	ds_write_b16 v60, v35 offset:2648
	ds_write_b16 v60, v8 offset:2650
	ds_write_b16 v60, v61 offset:3024
	ds_write_b16 v60, v62 offset:3026
	ds_write_b16 v60, v1 offset:3028
	v_mul_u32_u24_sdwa v1, v10, v28 dst_sel:DWORD dst_unused:UNUSED_PAD src0_sel:WORD_0 src1_sel:DWORD
	v_lshrrev_b32_e32 v31, 17, v12
	v_mul_u32_u24_sdwa v12, v9, v28 dst_sel:DWORD dst_unused:UNUSED_PAD src0_sel:WORD_0 src1_sel:DWORD
	v_mul_lo_u16 v7, v29, 3
	v_add_nc_u32_e32 v17, 63, v0
	v_lshrrev_b32_e32 v35, 17, v1
	v_mul_lo_u16 v1, v31, 3
	v_lshrrev_b32_e32 v36, 17, v12
	v_sub_nc_u16 v30, v0, v7
	v_mov_b32_e32 v7, 3
	v_mul_lo_u16 v12, v35, 3
	v_sub_nc_u16 v60, v11, v1
	v_mul_lo_u16 v13, v36, 3
	v_add_nc_u32_e32 v1, 0x7e, v0
	v_lshlrev_b32_sdwa v8, v7, v30 dst_sel:DWORD dst_unused:UNUSED_PAD src0_sel:DWORD src1_sel:BYTE_0
	v_sub_nc_u16 v61, v10, v12
	v_lshlrev_b32_sdwa v12, v7, v60 dst_sel:DWORD dst_unused:UNUSED_PAD src0_sel:DWORD src1_sel:WORD_0
	v_sub_nc_u16 v62, v9, v13
	s_waitcnt lgkmcnt(0)
	s_barrier
	v_lshlrev_b32_sdwa v13, v7, v61 dst_sel:DWORD dst_unused:UNUSED_PAD src0_sel:DWORD src1_sel:WORD_0
	buffer_gl0_inv
	v_lshlrev_b32_sdwa v32, v7, v62 dst_sel:DWORD dst_unused:UNUSED_PAD src0_sel:DWORD src1_sel:WORD_0
	s_clause 0x2
	global_load_dwordx2 v[37:38], v8, s[8:9]
	global_load_dwordx2 v[39:40], v12, s[8:9]
	;; [unrolled: 1-line block ×3, first 2 shown]
	v_and_b32_e32 v18, 0xff, v17
	global_load_dwordx2 v[47:48], v32, s[8:9]
	v_add_nc_u32_e32 v8, 0xbd, v0
	v_and_b32_e32 v16, 0xff, v1
	v_mul_u32_u24_e32 v31, 18, v31
	v_mul_lo_u16 v12, 0xab, v18
	v_mul_u32_u24_e32 v35, 18, v35
	v_and_b32_e32 v15, 0xff, v8
	v_mul_lo_u16 v13, 0xab, v16
	v_lshrrev_b16 v79, 9, v12
	v_mul_lo_u16 v12, 0xab, v15
	v_lshrrev_b16 v80, 9, v13
	;; [unrolled: 2-line block ×3, first 2 shown]
	v_mul_lo_u16 v32, v80, 3
	v_add_nc_u32_e32 v12, 0x1b9, v0
	v_sub_nc_u16 v82, v17, v13
	v_mul_lo_u16 v13, v81, 3
	v_sub_nc_u16 v83, v1, v32
	v_mul_u32_u24_sdwa v33, v12, v28 dst_sel:DWORD dst_unused:UNUSED_PAD src0_sel:WORD_0 src1_sel:DWORD
	v_lshlrev_b32_sdwa v32, v7, v82 dst_sel:DWORD dst_unused:UNUSED_PAD src0_sel:DWORD src1_sel:BYTE_0
	v_sub_nc_u16 v84, v8, v13
	v_lshlrev_b32_sdwa v34, v7, v83 dst_sel:DWORD dst_unused:UNUSED_PAD src0_sel:DWORD src1_sel:BYTE_0
	v_add_nc_u32_e32 v13, 0x1f8, v0
	v_lshrrev_b32_e32 v85, 17, v33
	global_load_dwordx2 v[49:50], v32, s[8:9]
	v_lshlrev_b32_sdwa v32, v7, v84 dst_sel:DWORD dst_unused:UNUSED_PAD src0_sel:DWORD src1_sel:BYTE_0
	s_clause 0x1
	global_load_dwordx2 v[51:52], v34, s[8:9]
	global_load_dwordx2 v[53:54], v32, s[8:9]
	v_mul_u32_u24_sdwa v28, v13, v28 dst_sel:DWORD dst_unused:UNUSED_PAD src0_sel:WORD_0 src1_sel:DWORD
	v_mul_lo_u16 v32, v85, 3
	v_lshrrev_b32_e32 v86, 17, v28
	v_sub_nc_u16 v87, v12, v32
	v_mul_lo_u16 v28, v86, 3
	v_lshlrev_b32_sdwa v32, v7, v87 dst_sel:DWORD dst_unused:UNUSED_PAD src0_sel:DWORD src1_sel:WORD_0
	v_sub_nc_u16 v88, v13, v28
	global_load_dwordx2 v[55:56], v32, s[8:9]
	v_lshlrev_b32_sdwa v28, v7, v88 dst_sel:DWORD dst_unused:UNUSED_PAD src0_sel:DWORD src1_sel:WORD_0
	global_load_dwordx2 v[57:58], v28, s[8:9]
	ds_read_u16 v33, v6 offset:1134
	ds_read_u16 v44, v6 offset:2268
	;; [unrolled: 1-line block ×19, first 2 shown]
	s_waitcnt vmcnt(8) lgkmcnt(18)
	v_mul_f16_sdwa v105, v33, v37 dst_sel:DWORD dst_unused:UNUSED_PAD src0_sel:DWORD src1_sel:WORD_1
	v_mul_f16_sdwa v106, v72, v37 dst_sel:DWORD dst_unused:UNUSED_PAD src0_sel:DWORD src1_sel:WORD_1
	s_waitcnt lgkmcnt(17)
	v_mul_f16_sdwa v107, v44, v38 dst_sel:DWORD dst_unused:UNUSED_PAD src0_sel:DWORD src1_sel:WORD_1
	v_mul_f16_sdwa v108, v74, v38 dst_sel:DWORD dst_unused:UNUSED_PAD src0_sel:DWORD src1_sel:WORD_1
	s_waitcnt vmcnt(7) lgkmcnt(16)
	v_mul_f16_sdwa v109, v89, v39 dst_sel:DWORD dst_unused:UNUSED_PAD src0_sel:DWORD src1_sel:WORD_1
	v_mul_f16_sdwa v110, v67, v39 dst_sel:DWORD dst_unused:UNUSED_PAD src0_sel:DWORD src1_sel:WORD_1
	s_waitcnt lgkmcnt(15)
	v_mul_f16_sdwa v111, v90, v40 dst_sel:DWORD dst_unused:UNUSED_PAD src0_sel:DWORD src1_sel:WORD_1
	v_mul_f16_sdwa v45, v63, v40 dst_sel:DWORD dst_unused:UNUSED_PAD src0_sel:DWORD src1_sel:WORD_1
	s_waitcnt vmcnt(6)
	v_mul_f16_sdwa v46, v68, v42 dst_sel:DWORD dst_unused:UNUSED_PAD src0_sel:DWORD src1_sel:WORD_1
	s_waitcnt lgkmcnt(9)
	v_mul_f16_sdwa v113, v96, v43 dst_sel:DWORD dst_unused:UNUSED_PAD src0_sel:DWORD src1_sel:WORD_1
	v_mul_f16_sdwa v41, v64, v43 dst_sel:DWORD dst_unused:UNUSED_PAD src0_sel:DWORD src1_sel:WORD_1
	s_waitcnt vmcnt(5) lgkmcnt(5)
	v_mul_f16_sdwa v115, v100, v48 dst_sel:DWORD dst_unused:UNUSED_PAD src0_sel:DWORD src1_sel:WORD_1
	v_mul_f16_sdwa v112, v94, v42 dst_sel:DWORD dst_unused:UNUSED_PAD src0_sel:DWORD src1_sel:WORD_1
	;; [unrolled: 1-line block ×5, first 2 shown]
	v_fma_f16 v72, v72, v37, -v105
	v_fmac_f16_e32 v106, v33, v37
	v_fma_f16 v74, v74, v38, -v107
	v_fmac_f16_e32 v108, v44, v38
	;; [unrolled: 2-line block ×4, first 2 shown]
	v_fmac_f16_e32 v46, v94, v42
	v_fma_f16 v64, v64, v43, -v113
	v_fmac_f16_e32 v41, v96, v43
	v_fma_f16 v44, v76, v48, -v115
	v_fma_f16 v68, v68, v42, -v112
	;; [unrolled: 1-line block ×3, first 2 shown]
	v_fmac_f16_e32 v34, v95, v47
	v_fmac_f16_e32 v32, v100, v48
	v_sub_f16_e32 v47, v106, v108
	v_mov_b32_e32 v105, 18
	s_waitcnt vmcnt(4)
	v_mul_f16_sdwa v33, v91, v49 dst_sel:DWORD dst_unused:UNUSED_PAD src0_sel:DWORD src1_sel:WORD_1
	v_mul_f16_sdwa v37, v97, v50 dst_sel:DWORD dst_unused:UNUSED_PAD src0_sel:DWORD src1_sel:WORD_1
	v_mul_f16_sdwa v76, v73, v50 dst_sel:DWORD dst_unused:UNUSED_PAD src0_sel:DWORD src1_sel:WORD_1
	v_mul_f16_sdwa v69, v71, v49 dst_sel:DWORD dst_unused:UNUSED_PAD src0_sel:DWORD src1_sel:WORD_1
	s_waitcnt vmcnt(3)
	v_mul_f16_sdwa v38, v92, v51 dst_sel:DWORD dst_unused:UNUSED_PAD src0_sel:DWORD src1_sel:WORD_1
	v_mul_f16_sdwa v89, v65, v51 dst_sel:DWORD dst_unused:UNUSED_PAD src0_sel:DWORD src1_sel:WORD_1
	v_mul_f16_sdwa v39, v98, v52 dst_sel:DWORD dst_unused:UNUSED_PAD src0_sel:DWORD src1_sel:WORD_1
	v_mul_f16_sdwa v90, v14, v52 dst_sel:DWORD dst_unused:UNUSED_PAD src0_sel:DWORD src1_sel:WORD_1
	;; [unrolled: 5-line block ×3, first 2 shown]
	v_fma_f16 v71, v71, v49, -v33
	v_fma_f16 v73, v73, v50, -v37
	v_fmac_f16_e32 v76, v97, v50
	v_fma_f16 v50, v65, v51, -v38
	v_fmac_f16_e32 v89, v92, v51
	;; [unrolled: 2-line block ×4, first 2 shown]
	v_fma_f16 v53, v59, v54, -v43
	s_waitcnt vmcnt(1) lgkmcnt(0)
	v_mul_f16_sdwa v14, v104, v55 dst_sel:DWORD dst_unused:UNUSED_PAD src0_sel:DWORD src1_sel:WORD_1
	v_mul_f16_sdwa v59, v70, v55 dst_sel:DWORD dst_unused:UNUSED_PAD src0_sel:DWORD src1_sel:WORD_1
	;; [unrolled: 1-line block ×4, first 2 shown]
	v_fmac_f16_e32 v95, v99, v54
	v_fma_f16 v54, v70, v55, -v14
	v_fmac_f16_e32 v59, v104, v55
	v_fma_f16 v55, v77, v56, -v33
	v_fmac_f16_e32 v65, v101, v56
	ds_read_u16 v56, v6
	s_waitcnt vmcnt(0)
	v_mul_f16_sdwa v14, v103, v57 dst_sel:DWORD dst_unused:UNUSED_PAD src0_sel:DWORD src1_sel:WORD_1
	v_add_f16_e32 v40, v27, v72
	v_fmac_f16_e32 v69, v91, v49
	v_mul_f16_sdwa v33, v102, v58 dst_sel:DWORD dst_unused:UNUSED_PAD src0_sel:DWORD src1_sel:WORD_1
	v_mul_f16_sdwa v37, v78, v58 dst_sel:DWORD dst_unused:UNUSED_PAD src0_sel:DWORD src1_sel:WORD_1
	v_fma_f16 v39, v75, v57, -v14
	v_add_f16_e32 v14, v72, v74
	v_add_f16_e32 v40, v40, v74
	v_fma_f16 v43, v78, v58, -v33
	v_add_f16_e32 v78, v26, v71
	v_add_f16_e32 v91, v25, v50
	v_fmac_f16_e32 v27, -0.5, v14
	v_add_f16_e32 v14, v106, v108
	v_add_f16_e32 v96, v24, v52
	v_mul_f16_sdwa v38, v75, v57 dst_sel:DWORD dst_unused:UNUSED_PAD src0_sel:DWORD src1_sel:WORD_1
	v_add_f16_e32 v101, v20, v42
	v_fmamk_f16 v49, v47, 0x3aee, v27
	v_fmac_f16_e32 v27, 0xbaee, v47
	v_add_f16_e32 v47, v71, v73
	s_waitcnt lgkmcnt(0)
	v_add_f16_e32 v48, v56, v106
	v_fmac_f16_e32 v56, -0.5, v14
	v_sub_f16_e32 v14, v72, v74
	v_fmac_f16_e32 v38, v103, v57
	v_fmac_f16_e32 v26, -0.5, v47
	v_add_f16_e32 v72, v48, v108
	v_add_f16_e32 v48, v50, v51
	v_fmamk_f16 v74, v14, 0xbaee, v56
	v_fmac_f16_e32 v56, 0x3aee, v14
	v_add_f16_e32 v14, v52, v53
	v_sub_f16_e32 v47, v69, v76
	v_fmac_f16_e32 v25, -0.5, v48
	v_sub_f16_e32 v48, v89, v90
	v_add_f16_e32 v103, v19, v54
	v_fmac_f16_e32 v24, -0.5, v14
	v_sub_f16_e32 v14, v94, v95
	v_fmamk_f16 v92, v47, 0x3aee, v26
	v_fmac_f16_e32 v26, 0xbaee, v47
	v_fmamk_f16 v47, v48, 0x3aee, v25
	v_fmac_f16_e32 v25, 0xbaee, v48
	;; [unrolled: 2-line block ×3, first 2 shown]
	v_add_f16_e32 v14, v42, v44
	v_mul_u32_u24_sdwa v29, v29, v105 dst_sel:DWORD dst_unused:UNUSED_PAD src0_sel:WORD_0 src1_sel:DWORD
	v_mul_u32_u24_sdwa v79, v79, v105 dst_sel:DWORD dst_unused:UNUSED_PAD src0_sel:WORD_0 src1_sel:DWORD
	;; [unrolled: 1-line block ×3, first 2 shown]
	v_fmac_f16_e32 v37, v102, v58
	v_fmac_f16_e32 v20, -0.5, v14
	v_add_f16_e32 v14, v54, v55
	ds_read_u16 v57, v6 offset:126
	ds_read_u16 v58, v6 offset:252
	;; [unrolled: 1-line block ×7, first 2 shown]
	s_waitcnt lgkmcnt(0)
	s_barrier
	buffer_gl0_inv
	v_fmac_f16_e32 v19, -0.5, v14
	v_mov_b32_e32 v14, 1
	v_add_f16_e32 v93, v67, v63
	v_add_f16_e32 v97, v23, v67
	;; [unrolled: 1-line block ×4, first 2 shown]
	v_lshlrev_b32_sdwa v30, v14, v30 dst_sel:DWORD dst_unused:UNUSED_PAD src0_sel:DWORD src1_sel:BYTE_0
	v_lshlrev_b32_sdwa v82, v14, v82 dst_sel:DWORD dst_unused:UNUSED_PAD src0_sel:DWORD src1_sel:BYTE_0
	;; [unrolled: 1-line block ×3, first 2 shown]
	v_fmac_f16_e32 v23, -0.5, v93
	v_sub_f16_e32 v93, v110, v45
	v_add3_u32 v29, 0, v29, v30
	v_add3_u32 v79, 0, v79, v82
	v_fmac_f16_e32 v22, -0.5, v98
	v_sub_f16_e32 v98, v46, v41
	v_fmamk_f16 v99, v93, 0x3aee, v23
	ds_write_b16 v29, v40
	v_add_f16_e32 v40, v78, v73
	ds_write_b16 v29, v49 offset:6
	v_add3_u32 v78, 0, v80, v83
	v_add_f16_e32 v49, v91, v51
	ds_write_b16 v29, v27 offset:12
	ds_write_b16 v79, v40
	ds_write_b16 v79, v92 offset:6
	ds_write_b16 v79, v26 offset:12
	ds_write_b16 v78, v49
	v_mul_u32_u24_sdwa v26, v81, v105 dst_sel:DWORD dst_unused:UNUSED_PAD src0_sel:WORD_0 src1_sel:DWORD
	v_lshlrev_b32_sdwa v27, v14, v84 dst_sel:DWORD dst_unused:UNUSED_PAD src0_sel:DWORD src1_sel:BYTE_0
	v_lshlrev_b32_sdwa v40, v14, v60 dst_sel:DWORD dst_unused:UNUSED_PAD src0_sel:DWORD src1_sel:WORD_0
	ds_write_b16 v78, v47 offset:6
	ds_write_b16 v78, v25 offset:12
	v_add_f16_e32 v25, v96, v53
	v_fmac_f16_e32 v23, 0xbaee, v93
	v_add3_u32 v60, 0, v26, v27
	v_lshlrev_b32_sdwa v27, v14, v61 dst_sel:DWORD dst_unused:UNUSED_PAD src0_sel:DWORD src1_sel:WORD_0
	v_add3_u32 v31, 0, v31, v40
	v_add_f16_e32 v26, v97, v63
	ds_write_b16 v60, v25
	ds_write_b16 v60, v48 offset:6
	ds_write_b16 v60, v24 offset:12
	ds_write_b16 v31, v26
	v_lshlrev_b32_sdwa v25, v14, v62 dst_sel:DWORD dst_unused:UNUSED_PAD src0_sel:DWORD src1_sel:WORD_0
	v_mul_u32_u24_e32 v26, 18, v36
	v_add3_u32 v61, 0, v35, v27
	v_add_f16_e32 v24, v100, v64
	v_fmamk_f16 v93, v98, 0x3aee, v22
	v_fmac_f16_e32 v22, 0xbaee, v98
	v_add_f16_e32 v104, v39, v43
	v_sub_f16_e32 v102, v34, v32
	ds_write_b16 v31, v99 offset:6
	ds_write_b16 v31, v23 offset:12
	ds_write_b16 v61, v24
	ds_write_b16 v61, v93 offset:6
	v_add3_u32 v62, 0, v26, v25
	v_add_f16_e32 v23, v101, v44
	v_lshlrev_b32_sdwa v24, v14, v87 dst_sel:DWORD dst_unused:UNUSED_PAD src0_sel:DWORD src1_sel:WORD_0
	v_mul_u32_u24_e32 v25, 18, v85
	v_sub_f16_e32 v106, v59, v65
	v_add_f16_e32 v107, v21, v39
	v_fmac_f16_e32 v21, -0.5, v104
	v_sub_f16_e32 v104, v38, v37
	ds_write_b16 v61, v22 offset:12
	v_lshlrev_b32_sdwa v22, v14, v88 dst_sel:DWORD dst_unused:UNUSED_PAD src0_sel:DWORD src1_sel:WORD_0
	v_mul_u32_u24_e32 v26, 18, v86
	v_fmamk_f16 v98, v102, 0x3aee, v20
	v_fmac_f16_e32 v20, 0xbaee, v102
	ds_write_b16 v62, v23
	v_add3_u32 v80, 0, v25, v24
	v_add_f16_e32 v23, v103, v55
	v_fmamk_f16 v102, v106, 0x3aee, v19
	v_fmac_f16_e32 v19, 0xbaee, v106
	v_fmamk_f16 v30, v104, 0x3aee, v21
	v_add3_u32 v81, 0, v26, v22
	v_add_f16_e32 v22, v107, v43
	v_fmac_f16_e32 v21, 0xbaee, v104
	ds_write_b16 v62, v98 offset:6
	ds_write_b16 v62, v20 offset:12
	ds_write_b16 v80, v23
	ds_write_b16 v80, v102 offset:6
	ds_write_b16 v80, v19 offset:12
	ds_write_b16 v81, v22
	ds_write_b16 v81, v30 offset:6
	ds_write_b16 v81, v21 offset:12
	v_add_f16_e32 v30, v69, v76
	s_waitcnt lgkmcnt(0)
	s_barrier
	buffer_gl0_inv
	ds_read_u16 v82, v6 offset:2520
	ds_read_u16 v83, v6 offset:2646
	;; [unrolled: 1-line block ×9, first 2 shown]
	ds_read_u16 v27, v6
	ds_read_u16 v26, v6 offset:126
	ds_read_u16 v25, v6 offset:252
	;; [unrolled: 1-line block ×17, first 2 shown]
	s_waitcnt lgkmcnt(0)
	s_barrier
	buffer_gl0_inv
	v_add_f16_e32 v69, v57, v69
	ds_write_b16 v29, v72
	v_fmac_f16_e32 v57, -0.5, v30
	v_sub_f16_e32 v30, v71, v73
	ds_write_b16 v29, v74 offset:6
	ds_write_b16 v29, v56 offset:12
	v_add_f16_e32 v29, v89, v90
	v_add_f16_e32 v69, v69, v76
	v_fmamk_f16 v56, v30, 0xbaee, v57
	v_fmac_f16_e32 v57, 0x3aee, v30
	v_add_f16_e32 v30, v58, v89
	v_fmac_f16_e32 v58, -0.5, v29
	v_sub_f16_e32 v29, v50, v51
	v_add_f16_e32 v50, v94, v95
	ds_write_b16 v79, v69
	v_add_f16_e32 v30, v30, v90
	ds_write_b16 v79, v56 offset:6
	ds_write_b16 v79, v57 offset:12
	v_fmamk_f16 v51, v29, 0xbaee, v58
	v_fmac_f16_e32 v58, 0x3aee, v29
	v_add_f16_e32 v29, v66, v94
	ds_write_b16 v78, v30
	v_fmac_f16_e32 v66, -0.5, v50
	v_sub_f16_e32 v30, v52, v53
	v_add_f16_e32 v50, v110, v45
	v_add_f16_e32 v29, v29, v95
	ds_write_b16 v78, v51 offset:6
	ds_write_b16 v78, v58 offset:12
	v_fmamk_f16 v51, v30, 0xbaee, v66
	v_fmac_f16_e32 v66, 0x3aee, v30
	ds_write_b16 v60, v29
	v_add_f16_e32 v29, v70, v110
	v_fmac_f16_e32 v70, -0.5, v50
	v_sub_f16_e32 v30, v67, v63
	v_add_f16_e32 v50, v46, v41
	v_add_f16_e32 v46, v75, v46
	;; [unrolled: 1-line block ×3, first 2 shown]
	ds_write_b16 v60, v51 offset:6
	v_fmamk_f16 v45, v30, 0xbaee, v70
	v_fmac_f16_e32 v70, 0x3aee, v30
	ds_write_b16 v60, v66 offset:12
	ds_write_b16 v31, v29
	v_add_f16_e32 v29, v46, v41
	v_fmac_f16_e32 v75, -0.5, v50
	v_sub_f16_e32 v50, v68, v64
	ds_write_b16 v31, v45 offset:6
	ds_write_b16 v31, v70 offset:12
	ds_write_b16 v61, v29
	v_add_f16_e32 v29, v34, v32
	v_add_f16_e32 v31, v77, v34
	v_fmamk_f16 v30, v50, 0xbaee, v75
	v_add_f16_e32 v41, v38, v37
	v_fmac_f16_e32 v75, 0x3aee, v50
	v_fmac_f16_e32 v77, -0.5, v29
	v_sub_f16_e32 v29, v42, v44
	ds_write_b16 v61, v30 offset:6
	ds_write_b16 v61, v75 offset:12
	v_add_f16_e32 v30, v59, v65
	v_add_f16_e32 v31, v31, v32
	v_fmamk_f16 v32, v29, 0xbaee, v77
	v_fmac_f16_e32 v77, 0x3aee, v29
	v_mul_lo_u16 v29, v5, 57
	v_add_f16_e32 v38, v28, v38
	v_fmac_f16_e32 v28, -0.5, v41
	v_sub_f16_e32 v39, v39, v43
	v_add_f16_e32 v34, v33, v59
	v_fmac_f16_e32 v33, -0.5, v30
	v_sub_f16_e32 v30, v54, v55
	v_lshrrev_b16 v29, 9, v29
	v_add_f16_e32 v37, v38, v37
	v_fmamk_f16 v38, v39, 0xbaee, v28
	v_fmac_f16_e32 v28, 0x3aee, v39
	v_mov_b32_e32 v39, 0xe38f
	v_add_f16_e32 v34, v34, v65
	v_fmamk_f16 v41, v30, 0xbaee, v33
	v_fmac_f16_e32 v33, 0x3aee, v30
	v_mul_lo_u16 v30, v29, 9
	ds_write_b16 v62, v31
	ds_write_b16 v62, v32 offset:6
	ds_write_b16 v62, v77 offset:12
	ds_write_b16 v80, v34
	v_mul_lo_u16 v31, v18, 57
	v_mul_u32_u24_sdwa v43, v11, v39 dst_sel:DWORD dst_unused:UNUSED_PAD src0_sel:WORD_0 src1_sel:DWORD
	ds_write_b16 v80, v41 offset:6
	v_sub_nc_u16 v30, v0, v30
	ds_write_b16 v80, v33 offset:12
	ds_write_b16 v81, v37
	ds_write_b16 v81, v38 offset:6
	v_lshrrev_b16 v31, 9, v31
	ds_write_b16 v81, v28 offset:12
	v_mul_lo_u16 v28, v16, 57
	v_lshrrev_b32_e32 v61, 19, v43
	v_mul_u32_u24_sdwa v50, v9, v39 dst_sel:DWORD dst_unused:UNUSED_PAD src0_sel:WORD_0 src1_sel:DWORD
	v_lshlrev_b32_sdwa v33, v7, v30 dst_sel:DWORD dst_unused:UNUSED_PAD src0_sel:DWORD src1_sel:BYTE_0
	v_mul_lo_u16 v34, v31, 9
	v_lshrrev_b16 v32, 9, v28
	v_mul_lo_u16 v28, v15, 57
	v_mul_lo_u16 v46, v61, 9
	v_lshrrev_b32_e32 v66, 19, v50
	s_waitcnt lgkmcnt(0)
	s_barrier
	buffer_gl0_inv
	global_load_dwordx2 v[37:38], v33, s[8:9] offset:24
	v_sub_nc_u16 v33, v17, v34
	v_mul_lo_u16 v34, v32, 9
	v_lshrrev_b16 v60, 9, v28
	v_sub_nc_u16 v64, v11, v46
	v_mul_lo_u16 v54, v66, 9
	v_lshlrev_b32_sdwa v28, v7, v33 dst_sel:DWORD dst_unused:UNUSED_PAD src0_sel:DWORD src1_sel:BYTE_0
	v_sub_nc_u16 v34, v1, v34
	v_mul_lo_u16 v44, v60, 9
	v_lshlrev_b32_sdwa v51, v7, v64 dst_sel:DWORD dst_unused:UNUSED_PAD src0_sel:DWORD src1_sel:WORD_0
	v_sub_nc_u16 v68, v9, v54
	global_load_dwordx2 v[41:42], v28, s[8:9] offset:24
	v_mul_u32_u24_sdwa v45, v10, v39 dst_sel:DWORD dst_unused:UNUSED_PAD src0_sel:WORD_0 src1_sel:DWORD
	v_sub_nc_u16 v62, v8, v44
	global_load_dwordx2 v[50:51], v51, s[8:9] offset:24
	v_lshlrev_b32_sdwa v28, v7, v34 dst_sel:DWORD dst_unused:UNUSED_PAD src0_sel:DWORD src1_sel:BYTE_0
	v_lshlrev_b32_sdwa v54, v7, v68 dst_sel:DWORD dst_unused:UNUSED_PAD src0_sel:DWORD src1_sel:WORD_0
	v_lshrrev_b32_e32 v63, 19, v45
	v_lshlrev_b32_sdwa v30, v14, v30 dst_sel:DWORD dst_unused:UNUSED_PAD src0_sel:DWORD src1_sel:BYTE_0
	v_lshlrev_b32_sdwa v33, v14, v33 dst_sel:DWORD dst_unused:UNUSED_PAD src0_sel:DWORD src1_sel:BYTE_0
	s_clause 0x1
	global_load_dwordx2 v[43:44], v28, s[8:9] offset:24
	global_load_dwordx2 v[54:55], v54, s[8:9] offset:24
	v_lshlrev_b32_sdwa v28, v7, v62 dst_sel:DWORD dst_unused:UNUSED_PAD src0_sel:DWORD src1_sel:BYTE_0
	v_lshlrev_b32_sdwa v34, v14, v34 dst_sel:DWORD dst_unused:UNUSED_PAD src0_sel:DWORD src1_sel:BYTE_0
	v_mul_lo_u16 v5, v5, 19
	v_mul_lo_u16 v18, v18, 19
	global_load_dwordx2 v[45:46], v28, s[8:9] offset:24
	v_mul_lo_u16 v28, v63, 9
	v_lshrrev_b16 v5, 9, v5
	v_lshrrev_b16 v18, 9, v18
	v_sub_nc_u16 v65, v10, v28
	v_mul_u32_u24_sdwa v28, v12, v39 dst_sel:DWORD dst_unused:UNUSED_PAD src0_sel:WORD_0 src1_sel:DWORD
	v_mul_u32_u24_sdwa v39, v13, v39 dst_sel:DWORD dst_unused:UNUSED_PAD src0_sel:WORD_0 src1_sel:DWORD
	v_lshlrev_b32_sdwa v52, v7, v65 dst_sel:DWORD dst_unused:UNUSED_PAD src0_sel:DWORD src1_sel:WORD_0
	v_lshrrev_b32_e32 v67, 19, v28
	v_lshrrev_b32_e32 v39, 19, v39
	global_load_dwordx2 v[52:53], v52, s[8:9] offset:24
	v_mul_lo_u16 v28, v67, 9
	v_sub_nc_u16 v69, v12, v28
	v_mul_lo_u16 v28, v39, 9
	v_lshlrev_b32_sdwa v56, v7, v69 dst_sel:DWORD dst_unused:UNUSED_PAD src0_sel:DWORD src1_sel:WORD_0
	v_sub_nc_u16 v70, v13, v28
	global_load_dwordx2 v[56:57], v56, s[8:9] offset:24
	v_lshlrev_b32_sdwa v28, v7, v70 dst_sel:DWORD dst_unused:UNUSED_PAD src0_sel:DWORD src1_sel:WORD_0
	global_load_dwordx2 v[58:59], v28, s[8:9] offset:24
	ds_read_u16 v71, v6 offset:1134
	ds_read_u16 v72, v6 offset:2268
	;; [unrolled: 1-line block ×15, first 2 shown]
	s_waitcnt vmcnt(8) lgkmcnt(14)
	v_mul_f16_sdwa v80, v71, v37 dst_sel:DWORD dst_unused:UNUSED_PAD src0_sel:DWORD src1_sel:WORD_1
	v_mul_f16_sdwa v81, v91, v37 dst_sel:DWORD dst_unused:UNUSED_PAD src0_sel:DWORD src1_sel:WORD_1
	s_waitcnt lgkmcnt(13)
	v_mul_f16_sdwa v99, v72, v38 dst_sel:DWORD dst_unused:UNUSED_PAD src0_sel:DWORD src1_sel:WORD_1
	v_fma_f16 v80, v91, v37, -v80
	v_fmac_f16_e32 v81, v71, v37
	v_mul_f16_sdwa v37, v93, v38 dst_sel:DWORD dst_unused:UNUSED_PAD src0_sel:DWORD src1_sel:WORD_1
	v_fma_f16 v91, v93, v38, -v99
	s_waitcnt vmcnt(7) lgkmcnt(12)
	v_mul_f16_sdwa v71, v73, v41 dst_sel:DWORD dst_unused:UNUSED_PAD src0_sel:DWORD src1_sel:WORD_1
	v_mul_f16_sdwa v93, v88, v41 dst_sel:DWORD dst_unused:UNUSED_PAD src0_sel:DWORD src1_sel:WORD_1
	v_fmac_f16_e32 v37, v72, v38
	v_mul_f16_sdwa v72, v92, v42 dst_sel:DWORD dst_unused:UNUSED_PAD src0_sel:DWORD src1_sel:WORD_1
	s_waitcnt lgkmcnt(11)
	v_mul_f16_sdwa v99, v74, v42 dst_sel:DWORD dst_unused:UNUSED_PAD src0_sel:DWORD src1_sel:WORD_1
	v_fma_f16 v71, v88, v41, -v71
	v_fmac_f16_e32 v93, v73, v41
	v_fmac_f16_e32 v72, v74, v42
	s_waitcnt vmcnt(5) lgkmcnt(10)
	v_mul_f16_sdwa v38, v75, v43 dst_sel:DWORD dst_unused:UNUSED_PAD src0_sel:DWORD src1_sel:WORD_1
	v_mul_f16_sdwa v88, v84, v43 dst_sel:DWORD dst_unused:UNUSED_PAD src0_sel:DWORD src1_sel:WORD_1
	s_waitcnt lgkmcnt(4)
	v_mul_f16_sdwa v41, v89, v44 dst_sel:DWORD dst_unused:UNUSED_PAD src0_sel:DWORD src1_sel:WORD_1
	v_mul_f16_sdwa v74, v82, v44 dst_sel:DWORD dst_unused:UNUSED_PAD src0_sel:DWORD src1_sel:WORD_1
	v_fma_f16 v73, v92, v42, -v99
	v_fma_f16 v84, v84, v43, -v38
	v_fmac_f16_e32 v88, v75, v43
	s_waitcnt vmcnt(3)
	v_mul_f16_sdwa v38, v76, v45 dst_sel:DWORD dst_unused:UNUSED_PAD src0_sel:DWORD src1_sel:WORD_1
	ds_read_u16 v43, v6 offset:2016
	v_fma_f16 v75, v82, v44, -v41
	v_fmac_f16_e32 v74, v89, v44
	ds_read_u16 v44, v6 offset:3150
	v_mul_f16_sdwa v82, v85, v45 dst_sel:DWORD dst_unused:UNUSED_PAD src0_sel:DWORD src1_sel:WORD_1
	s_waitcnt lgkmcnt(5)
	v_mul_f16_sdwa v41, v90, v46 dst_sel:DWORD dst_unused:UNUSED_PAD src0_sel:DWORD src1_sel:WORD_1
	v_fma_f16 v85, v85, v45, -v38
	v_mul_f16_sdwa v89, v83, v46 dst_sel:DWORD dst_unused:UNUSED_PAD src0_sel:DWORD src1_sel:WORD_1
	v_mul_f16_sdwa v38, v77, v50 dst_sel:DWORD dst_unused:UNUSED_PAD src0_sel:DWORD src1_sel:WORD_1
	v_fmac_f16_e32 v82, v76, v45
	v_fma_f16 v76, v83, v46, -v41
	v_mul_f16_sdwa v83, v86, v50 dst_sel:DWORD dst_unused:UNUSED_PAD src0_sel:DWORD src1_sel:WORD_1
	v_fmac_f16_e32 v89, v90, v46
	v_fma_f16 v46, v86, v50, -v38
	s_waitcnt lgkmcnt(4)
	v_mul_f16_sdwa v38, v94, v51 dst_sel:DWORD dst_unused:UNUSED_PAD src0_sel:DWORD src1_sel:WORD_1
	s_waitcnt vmcnt(2)
	v_mul_f16_sdwa v42, v78, v52 dst_sel:DWORD dst_unused:UNUSED_PAD src0_sel:DWORD src1_sel:WORD_1
	v_mul_f16_sdwa v90, v87, v52 dst_sel:DWORD dst_unused:UNUSED_PAD src0_sel:DWORD src1_sel:WORD_1
	ds_read_u16 v41, v6 offset:3024
	v_mul_f16_sdwa v86, v49, v51 dst_sel:DWORD dst_unused:UNUSED_PAD src0_sel:DWORD src1_sel:WORD_1
	v_fmac_f16_e32 v83, v77, v50
	ds_read_u16 v77, v6 offset:3276
	v_fma_f16 v49, v49, v51, -v38
	v_fma_f16 v50, v87, v52, -v42
	v_fmac_f16_e32 v90, v78, v52
	s_waitcnt lgkmcnt(5)
	v_mul_f16_sdwa v38, v95, v53 dst_sel:DWORD dst_unused:UNUSED_PAD src0_sel:DWORD src1_sel:WORD_1
	v_mul_f16_sdwa v52, v47, v54 dst_sel:DWORD dst_unused:UNUSED_PAD src0_sel:DWORD src1_sel:WORD_1
	;; [unrolled: 1-line block ×3, first 2 shown]
	v_fmac_f16_e32 v86, v94, v51
	v_mul_f16_sdwa v51, v40, v53 dst_sel:DWORD dst_unused:UNUSED_PAD src0_sel:DWORD src1_sel:WORD_1
	v_fma_f16 v78, v40, v53, -v38
	v_fmac_f16_e32 v52, v79, v54
	s_waitcnt vmcnt(1) lgkmcnt(3)
	v_mul_f16_sdwa v38, v43, v56 dst_sel:DWORD dst_unused:UNUSED_PAD src0_sel:DWORD src1_sel:WORD_1
	v_mul_f16_sdwa v79, v48, v56 dst_sel:DWORD dst_unused:UNUSED_PAD src0_sel:DWORD src1_sel:WORD_1
	v_fma_f16 v47, v47, v54, -v42
	v_mul_f16_sdwa v54, v96, v55 dst_sel:DWORD dst_unused:UNUSED_PAD src0_sel:DWORD src1_sel:WORD_1
	s_waitcnt lgkmcnt(2)
	v_mul_f16_sdwa v40, v44, v57 dst_sel:DWORD dst_unused:UNUSED_PAD src0_sel:DWORD src1_sel:WORD_1
	v_fma_f16 v48, v48, v56, -v38
	v_fmac_f16_e32 v79, v43, v56
	ds_read_u16 v56, v6
	s_waitcnt lgkmcnt(2)
	v_mul_f16_sdwa v45, v41, v55 dst_sel:DWORD dst_unused:UNUSED_PAD src0_sel:DWORD src1_sel:WORD_1
	v_mul_f16_sdwa v87, v97, v57 dst_sel:DWORD dst_unused:UNUSED_PAD src0_sel:DWORD src1_sel:WORD_1
	s_waitcnt vmcnt(0)
	v_mul_f16_sdwa v38, v98, v58 dst_sel:DWORD dst_unused:UNUSED_PAD src0_sel:DWORD src1_sel:WORD_1
	v_fmac_f16_e32 v51, v95, v53
	v_fmac_f16_e32 v54, v41, v55
	v_fma_f16 v53, v96, v55, -v45
	v_fma_f16 v55, v97, v57, -v40
	v_fmac_f16_e32 v87, v44, v57
	v_mul_f16_sdwa v57, v35, v58 dst_sel:DWORD dst_unused:UNUSED_PAD src0_sel:DWORD src1_sel:WORD_1
	s_waitcnt lgkmcnt(1)
	v_mul_f16_sdwa v40, v77, v59 dst_sel:DWORD dst_unused:UNUSED_PAD src0_sel:DWORD src1_sel:WORD_1
	v_fma_f16 v92, v35, v58, -v38
	v_add_f16_e32 v35, v80, v91
	v_add_f16_e32 v104, v48, v55
	v_mul_f16_sdwa v45, v36, v59 dst_sel:DWORD dst_unused:UNUSED_PAD src0_sel:DWORD src1_sel:WORD_1
	v_fmac_f16_e32 v57, v98, v58
	v_fma_f16 v58, v36, v59, -v40
	v_add_f16_e32 v36, v27, v80
	v_fmac_f16_e32 v27, -0.5, v35
	v_sub_f16_e32 v38, v81, v37
	v_add_f16_e32 v35, v81, v37
	s_waitcnt lgkmcnt(0)
	v_add_f16_e32 v40, v56, v81
	v_add_f16_e32 v105, v19, v48
	v_fmac_f16_e32 v19, -0.5, v104
	v_mov_b32_e32 v104, 54
	v_fmac_f16_e32 v45, v77, v59
	v_add_f16_e32 v106, v92, v58
	v_fmamk_f16 v41, v38, 0x3aee, v27
	v_fmac_f16_e32 v27, 0xbaee, v38
	v_add_f16_e32 v38, v71, v73
	v_fmac_f16_e32 v56, -0.5, v35
	v_add_f16_e32 v35, v36, v91
	v_sub_f16_e32 v36, v80, v91
	v_add_f16_e32 v80, v40, v37
	v_add_f16_e32 v37, v84, v75
	;; [unrolled: 1-line block ×6, first 2 shown]
	v_mul_u32_u24_sdwa v29, v29, v104 dst_sel:DWORD dst_unused:UNUSED_PAD src0_sel:WORD_0 src1_sel:DWORD
	v_add_f16_e32 v40, v26, v71
	v_add_f16_e32 v108, v21, v92
	v_fmac_f16_e32 v21, -0.5, v106
	v_sub_f16_e32 v106, v57, v45
	v_mul_u32_u24_sdwa v31, v31, v104 dst_sel:DWORD dst_unused:UNUSED_PAD src0_sel:WORD_0 src1_sel:DWORD
	v_fmac_f16_e32 v26, -0.5, v38
	v_sub_f16_e32 v38, v93, v72
	v_add_f16_e32 v42, v25, v84
	v_fmac_f16_e32 v25, -0.5, v37
	v_sub_f16_e32 v37, v88, v74
	v_add_f16_e32 v98, v24, v85
	;; [unrolled: 3-line block ×5, first 2 shown]
	v_fmac_f16_e32 v20, -0.5, v101
	v_sub_f16_e32 v101, v52, v54
	v_sub_f16_e32 v107, v79, v87
	v_mul_u32_u24_sdwa v32, v32, v104 dst_sel:DWORD dst_unused:UNUSED_PAD src0_sel:WORD_0 src1_sel:DWORD
	v_add3_u32 v29, 0, v29, v30
	v_fmamk_f16 v30, v106, 0x3aee, v21
	v_fmac_f16_e32 v21, 0xbaee, v106
	v_add3_u32 v106, 0, v31, v33
	v_add_f16_e32 v31, v40, v73
	v_fmamk_f16 v81, v36, 0xbaee, v56
	v_fmac_f16_e32 v56, 0x3aee, v36
	v_fmamk_f16 v36, v38, 0x3aee, v26
	v_fmac_f16_e32 v26, 0xbaee, v38
	;; [unrolled: 2-line block ×8, first 2 shown]
	v_add3_u32 v107, 0, v32, v34
	v_add_f16_e32 v32, v42, v75
	ds_read_u16 v59, v6 offset:126
	ds_read_u16 v77, v6 offset:252
	;; [unrolled: 1-line block ×7, first 2 shown]
	s_waitcnt lgkmcnt(0)
	s_barrier
	buffer_gl0_inv
	ds_write_b16 v29, v35
	ds_write_b16 v29, v41 offset:18
	ds_write_b16 v29, v27 offset:36
	ds_write_b16 v106, v31
	ds_write_b16 v106, v36 offset:18
	ds_write_b16 v106, v26 offset:36
	ds_write_b16 v107, v32
	v_mul_u32_u24_sdwa v26, v60, v104 dst_sel:DWORD dst_unused:UNUSED_PAD src0_sel:WORD_0 src1_sel:DWORD
	v_lshlrev_b32_sdwa v27, v14, v62 dst_sel:DWORD dst_unused:UNUSED_PAD src0_sel:DWORD src1_sel:BYTE_0
	v_lshlrev_b32_sdwa v31, v14, v64 dst_sel:DWORD dst_unused:UNUSED_PAD src0_sel:DWORD src1_sel:WORD_0
	v_mul_u32_u24_e32 v32, 54, v61
	ds_write_b16 v107, v38 offset:18
	ds_write_b16 v107, v25 offset:36
	v_add_f16_e32 v25, v98, v76
	v_add3_u32 v60, 0, v26, v27
	v_lshlrev_b32_sdwa v27, v14, v65 dst_sel:DWORD dst_unused:UNUSED_PAD src0_sel:DWORD src1_sel:WORD_0
	v_add3_u32 v61, 0, v32, v31
	v_mul_u32_u24_e32 v31, 54, v63
	v_add_f16_e32 v26, v99, v49
	ds_write_b16 v60, v25
	ds_write_b16 v60, v37 offset:18
	ds_write_b16 v60, v24 offset:36
	ds_write_b16 v61, v26
	v_lshlrev_b32_sdwa v25, v14, v68 dst_sel:DWORD dst_unused:UNUSED_PAD src0_sel:DWORD src1_sel:WORD_0
	v_mul_u32_u24_e32 v26, 54, v66
	v_add3_u32 v62, 0, v31, v27
	v_add_f16_e32 v24, v102, v78
	ds_write_b16 v61, v44 offset:18
	ds_write_b16 v61, v23 offset:36
	ds_write_b16 v62, v24
	ds_write_b16 v62, v91 offset:18
	v_add3_u32 v63, 0, v26, v25
	v_add_f16_e32 v23, v103, v53
	v_lshlrev_b32_sdwa v24, v14, v69 dst_sel:DWORD dst_unused:UNUSED_PAD src0_sel:DWORD src1_sel:WORD_0
	v_mul_u32_u24_e32 v25, 54, v67
	ds_write_b16 v62, v22 offset:36
	v_lshlrev_b32_sdwa v22, v14, v70 dst_sel:DWORD dst_unused:UNUSED_PAD src0_sel:DWORD src1_sel:WORD_0
	v_mul_u32_u24_e32 v26, 54, v39
	ds_write_b16 v63, v23
	v_add3_u32 v64, 0, v25, v24
	v_add_f16_e32 v23, v105, v55
	v_add_f16_e32 v70, v93, v72
	v_add3_u32 v65, 0, v26, v22
	v_add_f16_e32 v22, v108, v58
	ds_write_b16 v63, v100 offset:18
	ds_write_b16 v63, v20 offset:36
	ds_write_b16 v64, v23
	ds_write_b16 v64, v101 offset:18
	ds_write_b16 v64, v19 offset:36
	ds_write_b16 v65, v22
	ds_write_b16 v65, v30 offset:18
	ds_write_b16 v65, v21 offset:36
	s_waitcnt lgkmcnt(0)
	s_barrier
	buffer_gl0_inv
	ds_read_u16 v40, v6 offset:2520
	ds_read_u16 v38, v6 offset:2646
	;; [unrolled: 1-line block ×9, first 2 shown]
	ds_read_u16 v27, v6
	ds_read_u16 v26, v6 offset:126
	ds_read_u16 v25, v6 offset:252
	;; [unrolled: 1-line block ×17, first 2 shown]
	s_waitcnt lgkmcnt(0)
	s_barrier
	buffer_gl0_inv
	ds_write_b16 v29, v80
	v_add_f16_e32 v80, v59, v93
	v_fmac_f16_e32 v59, -0.5, v70
	v_sub_f16_e32 v70, v71, v73
	ds_write_b16 v29, v81 offset:18
	ds_write_b16 v29, v56 offset:36
	v_add_f16_e32 v56, v88, v74
	v_add_f16_e32 v29, v80, v72
	v_sub_f16_e32 v46, v46, v49
	v_fmamk_f16 v71, v70, 0xbaee, v59
	v_fmac_f16_e32 v59, 0x3aee, v70
	v_add_f16_e32 v70, v77, v88
	ds_write_b16 v106, v29
	v_fmac_f16_e32 v77, -0.5, v56
	v_sub_f16_e32 v29, v84, v75
	ds_write_b16 v106, v59 offset:36
	v_add_f16_e32 v56, v70, v74
	v_add_f16_e32 v59, v82, v89
	ds_write_b16 v106, v71 offset:18
	v_fmamk_f16 v70, v29, 0xbaee, v77
	v_fmac_f16_e32 v77, 0x3aee, v29
	v_add_f16_e32 v29, v94, v82
	ds_write_b16 v107, v56
	v_fmac_f16_e32 v94, -0.5, v59
	v_sub_f16_e32 v56, v85, v76
	v_add_f16_e32 v59, v83, v86
	v_add_f16_e32 v29, v29, v89
	;; [unrolled: 1-line block ×3, first 2 shown]
	ds_write_b16 v107, v70 offset:18
	v_fmamk_f16 v70, v56, 0xbaee, v94
	v_fmac_f16_e32 v95, -0.5, v59
	v_fmac_f16_e32 v94, 0x3aee, v56
	ds_write_b16 v107, v77 offset:36
	ds_write_b16 v60, v29
	v_add_f16_e32 v29, v71, v86
	ds_write_b16 v60, v70 offset:18
	v_fmamk_f16 v49, v46, 0xbaee, v95
	v_fmac_f16_e32 v95, 0x3aee, v46
	ds_write_b16 v60, v94 offset:36
	ds_write_b16 v61, v29
	v_add_f16_e32 v29, v90, v51
	v_add_f16_e32 v46, v52, v54
	ds_write_b16 v61, v49 offset:18
	ds_write_b16 v61, v95 offset:36
	v_add_f16_e32 v49, v96, v90
	v_sub_f16_e32 v48, v48, v55
	v_fmac_f16_e32 v96, -0.5, v29
	v_sub_f16_e32 v29, v50, v78
	v_add_f16_e32 v50, v97, v52
	v_fmac_f16_e32 v97, -0.5, v46
	v_sub_f16_e32 v46, v47, v53
	v_add_f16_e32 v47, v49, v51
	v_fmamk_f16 v49, v29, 0xbaee, v96
	v_fmac_f16_e32 v96, 0x3aee, v29
	v_add_f16_e32 v29, v50, v54
	v_add_f16_e32 v50, v79, v87
	v_fmamk_f16 v51, v46, 0xbaee, v97
	v_fmac_f16_e32 v97, 0x3aee, v46
	v_add_f16_e32 v46, v57, v45
	v_add_f16_e32 v52, v43, v79
	v_fmac_f16_e32 v43, -0.5, v50
	v_add_f16_e32 v50, v28, v57
	ds_write_b16 v62, v47
	ds_write_b16 v62, v49 offset:18
	ds_write_b16 v62, v96 offset:36
	v_fmac_f16_e32 v28, -0.5, v46
	v_sub_f16_e32 v46, v92, v58
	v_fmamk_f16 v53, v48, 0xbaee, v43
	v_fmac_f16_e32 v43, 0x3aee, v48
	v_add_f16_e32 v45, v50, v45
	v_add_f16_e32 v52, v52, v87
	v_fmamk_f16 v48, v46, 0xbaee, v28
	v_fmac_f16_e32 v28, 0x3aee, v46
	v_mul_lo_u16 v46, v5, 27
	ds_write_b16 v63, v29
	ds_write_b16 v63, v51 offset:18
	ds_write_b16 v63, v97 offset:36
	ds_write_b16 v64, v52
	ds_write_b16 v64, v53 offset:18
	ds_write_b16 v64, v43 offset:36
	ds_write_b16 v65, v45
	v_mul_lo_u16 v43, v18, 27
	ds_write_b16 v65, v28 offset:36
	v_sub_nc_u16 v29, v0, v46
	v_mov_b32_e32 v28, 0x2f69
	v_mul_lo_u16 v46, v16, 19
	ds_write_b16 v65, v48 offset:18
	v_sub_nc_u16 v45, v17, v43
	v_lshlrev_b32_sdwa v47, v7, v29 dst_sel:DWORD dst_unused:UNUSED_PAD src0_sel:DWORD src1_sel:BYTE_0
	v_mul_u32_u24_sdwa v48, v11, v28 dst_sel:DWORD dst_unused:UNUSED_PAD src0_sel:WORD_0 src1_sel:DWORD
	v_lshrrev_b16 v43, 9, v46
	v_mul_lo_u16 v46, v15, 19
	v_mul_u32_u24_sdwa v52, v10, v28 dst_sel:DWORD dst_unused:UNUSED_PAD src0_sel:WORD_0 src1_sel:DWORD
	v_mul_u32_u24_sdwa v54, v9, v28 dst_sel:DWORD dst_unused:UNUSED_PAD src0_sel:WORD_0 src1_sel:DWORD
	v_lshrrev_b32_e32 v49, 16, v48
	v_mul_lo_u16 v51, v43, 27
	v_lshrrev_b16 v46, 9, v46
	s_waitcnt lgkmcnt(0)
	s_barrier
	v_sub_nc_u16 v53, v11, v49
	v_sub_nc_u16 v65, v1, v51
	v_lshrrev_b32_e32 v51, 16, v52
	v_mul_lo_u16 v52, v46, 27
	buffer_gl0_inv
	v_lshrrev_b16 v53, 1, v53
	v_lshlrev_b32_sdwa v50, v7, v45 dst_sel:DWORD dst_unused:UNUSED_PAD src0_sel:DWORD src1_sel:BYTE_0
	v_sub_nc_u16 v56, v10, v51
	global_load_dwordx2 v[47:48], v47, s[8:9] offset:96
	v_sub_nc_u16 v70, v8, v52
	v_add_nc_u16 v52, v53, v49
	global_load_dwordx2 v[49:50], v50, s[8:9] offset:96
	v_lshrrev_b32_e32 v57, 16, v54
	v_lshrrev_b16 v53, 1, v56
	v_lshlrev_b32_sdwa v55, v7, v65 dst_sel:DWORD dst_unused:UNUSED_PAD src0_sel:DWORD src1_sel:BYTE_0
	v_mul_u32_u24_sdwa v54, v12, v28 dst_sel:DWORD dst_unused:UNUSED_PAD src0_sel:WORD_0 src1_sel:DWORD
	v_lshrrev_b16 v71, 4, v52
	v_sub_nc_u16 v58, v9, v57
	v_add_nc_u16 v59, v53, v51
	global_load_dwordx2 v[51:52], v55, s[8:9] offset:96
	v_lshlrev_b32_sdwa v56, v7, v70 dst_sel:DWORD dst_unused:UNUSED_PAD src0_sel:DWORD src1_sel:BYTE_0
	v_lshrrev_b32_e32 v60, 16, v54
	v_mul_lo_u16 v61, v71, 27
	v_lshrrev_b16 v55, 1, v58
	v_lshrrev_b16 v72, 4, v59
	global_load_dwordx2 v[53:54], v56, s[8:9] offset:96
	v_sub_nc_u16 v56, v12, v60
	v_sub_nc_u16 v73, v11, v61
	v_add_nc_u16 v55, v55, v57
	v_mul_u32_u24_sdwa v28, v13, v28 dst_sel:DWORD dst_unused:UNUSED_PAD src0_sel:WORD_0 src1_sel:DWORD
	v_mul_lo_u16 v57, v72, 27
	v_lshrrev_b16 v59, 1, v56
	v_lshlrev_b32_sdwa v58, v7, v73 dst_sel:DWORD dst_unused:UNUSED_PAD src0_sel:DWORD src1_sel:WORD_0
	v_lshrrev_b16 v74, 4, v55
	v_lshrrev_b32_e32 v28, 16, v28
	v_sub_nc_u16 v75, v10, v57
	v_add_nc_u16 v57, v59, v60
	global_load_dwordx2 v[55:56], v58, s[8:9] offset:96
	v_mul_lo_u16 v60, v74, 27
	v_sub_nc_u16 v58, v13, v28
	v_lshlrev_b32_sdwa v59, v7, v75 dst_sel:DWORD dst_unused:UNUSED_PAD src0_sel:DWORD src1_sel:WORD_0
	v_lshrrev_b16 v76, 4, v57
	v_lshlrev_b32_sdwa v29, v14, v29 dst_sel:DWORD dst_unused:UNUSED_PAD src0_sel:DWORD src1_sel:BYTE_0
	v_sub_nc_u16 v77, v9, v60
	v_lshrrev_b16 v61, 1, v58
	global_load_dwordx2 v[57:58], v59, s[8:9] offset:96
	v_mul_lo_u16 v59, v76, 27
	v_lshlrev_b32_sdwa v45, v14, v45 dst_sel:DWORD dst_unused:UNUSED_PAD src0_sel:DWORD src1_sel:BYTE_0
	v_lshlrev_b32_sdwa v60, v7, v77 dst_sel:DWORD dst_unused:UNUSED_PAD src0_sel:DWORD src1_sel:WORD_0
	v_add_nc_u16 v28, v61, v28
	v_lshlrev_b32_sdwa v65, v14, v65 dst_sel:DWORD dst_unused:UNUSED_PAD src0_sel:DWORD src1_sel:BYTE_0
	v_sub_nc_u16 v78, v12, v59
	v_mul_lo_u16 v16, 0xcb, v16
	global_load_dwordx2 v[59:60], v60, s[8:9] offset:96
	v_lshrrev_b16 v79, 4, v28
	v_mul_lo_u16 v15, 0xcb, v15
	v_lshlrev_b32_sdwa v61, v7, v78 dst_sel:DWORD dst_unused:UNUSED_PAD src0_sel:DWORD src1_sel:WORD_0
	v_lshrrev_b16 v16, 14, v16
	v_mul_lo_u16 v28, v79, 27
	v_lshrrev_b16 v15, 14, v15
	global_load_dwordx2 v[61:62], v61, s[8:9] offset:96
	v_sub_nc_u16 v80, v13, v28
	v_lshlrev_b32_sdwa v28, v7, v80 dst_sel:DWORD dst_unused:UNUSED_PAD src0_sel:DWORD src1_sel:WORD_0
	global_load_dwordx2 v[63:64], v28, s[8:9] offset:96
	ds_read_u16 v81, v6 offset:1134
	ds_read_u16 v82, v6 offset:2268
	;; [unrolled: 1-line block ×15, first 2 shown]
	s_waitcnt vmcnt(8) lgkmcnt(14)
	v_mul_f16_sdwa v90, v81, v47 dst_sel:DWORD dst_unused:UNUSED_PAD src0_sel:DWORD src1_sel:WORD_1
	v_mul_f16_sdwa v91, v67, v47 dst_sel:DWORD dst_unused:UNUSED_PAD src0_sel:DWORD src1_sel:WORD_1
	s_waitcnt lgkmcnt(13)
	v_mul_f16_sdwa v97, v82, v48 dst_sel:DWORD dst_unused:UNUSED_PAD src0_sel:DWORD src1_sel:WORD_1
	v_fma_f16 v67, v67, v47, -v90
	v_fmac_f16_e32 v91, v81, v47
	v_mul_f16_sdwa v47, v69, v48 dst_sel:DWORD dst_unused:UNUSED_PAD src0_sel:DWORD src1_sel:WORD_1
	s_waitcnt vmcnt(7) lgkmcnt(12)
	v_mul_f16_sdwa v81, v83, v49 dst_sel:DWORD dst_unused:UNUSED_PAD src0_sel:DWORD src1_sel:WORD_1
	v_fma_f16 v69, v69, v48, -v97
	v_mul_f16_sdwa v90, v66, v49 dst_sel:DWORD dst_unused:UNUSED_PAD src0_sel:DWORD src1_sel:WORD_1
	s_waitcnt lgkmcnt(11)
	v_mul_f16_sdwa v97, v84, v50 dst_sel:DWORD dst_unused:UNUSED_PAD src0_sel:DWORD src1_sel:WORD_1
	v_fmac_f16_e32 v47, v82, v48
	v_fma_f16 v48, v66, v49, -v81
	v_mul_f16_sdwa v66, v68, v50 dst_sel:DWORD dst_unused:UNUSED_PAD src0_sel:DWORD src1_sel:WORD_1
	v_fmac_f16_e32 v90, v83, v49
	v_fma_f16 v49, v68, v50, -v97
	s_waitcnt vmcnt(6) lgkmcnt(10)
	v_mul_f16_sdwa v68, v85, v51 dst_sel:DWORD dst_unused:UNUSED_PAD src0_sel:DWORD src1_sel:WORD_1
	v_mul_f16_sdwa v81, v44, v51 dst_sel:DWORD dst_unused:UNUSED_PAD src0_sel:DWORD src1_sel:WORD_1
	v_fmac_f16_e32 v66, v84, v50
	s_waitcnt lgkmcnt(4)
	v_mul_f16_sdwa v50, v92, v52 dst_sel:DWORD dst_unused:UNUSED_PAD src0_sel:DWORD src1_sel:WORD_1
	v_mul_f16_sdwa v82, v40, v52 dst_sel:DWORD dst_unused:UNUSED_PAD src0_sel:DWORD src1_sel:WORD_1
	v_fma_f16 v44, v44, v51, -v68
	v_fmac_f16_e32 v81, v85, v51
	s_waitcnt vmcnt(5)
	v_mul_f16_sdwa v51, v86, v53 dst_sel:DWORD dst_unused:UNUSED_PAD src0_sel:DWORD src1_sel:WORD_1
	v_fma_f16 v40, v40, v52, -v50
	v_fmac_f16_e32 v82, v92, v52
	s_waitcnt lgkmcnt(3)
	v_mul_f16_sdwa v52, v93, v54 dst_sel:DWORD dst_unused:UNUSED_PAD src0_sel:DWORD src1_sel:WORD_1
	v_mul_f16_sdwa v50, v42, v53 dst_sel:DWORD dst_unused:UNUSED_PAD src0_sel:DWORD src1_sel:WORD_1
	v_fma_f16 v42, v42, v53, -v51
	v_mul_f16_sdwa v51, v38, v54 dst_sel:DWORD dst_unused:UNUSED_PAD src0_sel:DWORD src1_sel:WORD_1
	s_waitcnt vmcnt(4)
	v_mul_f16_sdwa v68, v87, v55 dst_sel:DWORD dst_unused:UNUSED_PAD src0_sel:DWORD src1_sel:WORD_1
	v_fma_f16 v38, v38, v54, -v52
	ds_read_u16 v52, v6 offset:3024
	v_fmac_f16_e32 v50, v86, v53
	ds_read_u16 v86, v6 offset:3150
	v_fmac_f16_e32 v51, v93, v54
	s_waitcnt vmcnt(3)
	v_mul_f16_sdwa v83, v88, v57 dst_sel:DWORD dst_unused:UNUSED_PAD src0_sel:DWORD src1_sel:WORD_1
	v_mul_f16_sdwa v85, v36, v57 dst_sel:DWORD dst_unused:UNUSED_PAD src0_sel:DWORD src1_sel:WORD_1
	v_fma_f16 v53, v41, v55, -v68
	v_mul_f16_sdwa v41, v41, v55 dst_sel:DWORD dst_unused:UNUSED_PAD src0_sel:DWORD src1_sel:WORD_1
	s_waitcnt lgkmcnt(4)
	v_mul_f16_sdwa v54, v94, v56 dst_sel:DWORD dst_unused:UNUSED_PAD src0_sel:DWORD src1_sel:WORD_1
	v_fma_f16 v36, v36, v57, -v83
	ds_read_u16 v83, v6 offset:3276
	ds_read_u16 v84, v6 offset:2016
	v_mul_f16_sdwa v68, v35, v56 dst_sel:DWORD dst_unused:UNUSED_PAD src0_sel:DWORD src1_sel:WORD_1
	v_fmac_f16_e32 v41, v87, v55
	v_fma_f16 v35, v35, v56, -v54
	s_waitcnt lgkmcnt(5)
	v_mul_f16_sdwa v54, v95, v58 dst_sel:DWORD dst_unused:UNUSED_PAD src0_sel:DWORD src1_sel:WORD_1
	v_mul_f16_sdwa v55, v32, v58 dst_sel:DWORD dst_unused:UNUSED_PAD src0_sel:DWORD src1_sel:WORD_1
	v_fmac_f16_e32 v68, v94, v56
	s_waitcnt vmcnt(2)
	v_mul_f16_sdwa v56, v89, v59 dst_sel:DWORD dst_unused:UNUSED_PAD src0_sel:DWORD src1_sel:WORD_1
	v_fmac_f16_e32 v85, v88, v57
	s_waitcnt lgkmcnt(3)
	v_mul_f16_sdwa v87, v52, v60 dst_sel:DWORD dst_unused:UNUSED_PAD src0_sel:DWORD src1_sel:WORD_1
	v_fma_f16 v54, v32, v58, -v54
	v_fmac_f16_e32 v55, v95, v58
	v_mul_f16_sdwa v57, v33, v59 dst_sel:DWORD dst_unused:UNUSED_PAD src0_sel:DWORD src1_sel:WORD_1
	v_fma_f16 v56, v33, v59, -v56
	v_fma_f16 v58, v39, v60, -v87
	v_mul_f16_sdwa v39, v39, v60 dst_sel:DWORD dst_unused:UNUSED_PAD src0_sel:DWORD src1_sel:WORD_1
	s_waitcnt vmcnt(1) lgkmcnt(2)
	v_mul_f16_sdwa v33, v86, v62 dst_sel:DWORD dst_unused:UNUSED_PAD src0_sel:DWORD src1_sel:WORD_1
	v_fmac_f16_e32 v57, v89, v59
	v_mul_f16_sdwa v59, v34, v61 dst_sel:DWORD dst_unused:UNUSED_PAD src0_sel:DWORD src1_sel:WORD_1
	v_mul_f16_sdwa v87, v37, v62 dst_sel:DWORD dst_unused:UNUSED_PAD src0_sel:DWORD src1_sel:WORD_1
	v_fmac_f16_e32 v39, v52, v60
	ds_read_u16 v52, v6
	s_waitcnt lgkmcnt(1)
	v_mul_f16_sdwa v32, v84, v61 dst_sel:DWORD dst_unused:UNUSED_PAD src0_sel:DWORD src1_sel:WORD_1
	v_fma_f16 v37, v37, v62, -v33
	v_fmac_f16_e32 v87, v86, v62
	s_waitcnt vmcnt(0)
	v_mul_f16_sdwa v60, v30, v63 dst_sel:DWORD dst_unused:UNUSED_PAD src0_sel:DWORD src1_sel:WORD_1
	v_mul_f16_sdwa v33, v83, v64 dst_sel:DWORD dst_unused:UNUSED_PAD src0_sel:DWORD src1_sel:WORD_1
	v_fma_f16 v34, v34, v61, -v32
	v_mul_f16_sdwa v32, v96, v63 dst_sel:DWORD dst_unused:UNUSED_PAD src0_sel:DWORD src1_sel:WORD_1
	v_fmac_f16_e32 v59, v84, v61
	v_mul_f16_sdwa v61, v31, v64 dst_sel:DWORD dst_unused:UNUSED_PAD src0_sel:DWORD src1_sel:WORD_1
	v_fmac_f16_e32 v60, v96, v63
	v_add_f16_e32 v102, v34, v37
	v_fma_f16 v62, v30, v63, -v32
	v_add_f16_e32 v30, v67, v69
	v_fma_f16 v63, v31, v64, -v33
	v_add_f16_e32 v31, v27, v67
	v_sub_f16_e32 v32, v91, v47
	v_add_f16_e32 v103, v19, v34
	v_fmac_f16_e32 v27, -0.5, v30
	v_add_f16_e32 v30, v91, v47
	v_fmac_f16_e32 v19, -0.5, v102
	v_mov_b32_e32 v102, 0xa2
	s_waitcnt lgkmcnt(0)
	v_add_f16_e32 v33, v52, v91
	v_add_f16_e32 v91, v26, v48
	v_fmac_f16_e32 v52, -0.5, v30
	v_add_f16_e32 v30, v31, v69
	v_sub_f16_e32 v31, v67, v69
	v_fmamk_f16 v67, v32, 0x3aee, v27
	v_fmac_f16_e32 v27, 0xbaee, v32
	v_add_f16_e32 v32, v48, v49
	v_mul_u32_u24_sdwa v5, v5, v102 dst_sel:DWORD dst_unused:UNUSED_PAD src0_sel:WORD_0 src1_sel:DWORD
	v_mul_u32_u24_sdwa v18, v18, v102 dst_sel:DWORD dst_unused:UNUSED_PAD src0_sel:WORD_0 src1_sel:DWORD
	v_add_f16_e32 v47, v33, v47
	v_add_f16_e32 v33, v44, v40
	v_fmac_f16_e32 v26, -0.5, v32
	v_sub_f16_e32 v32, v90, v66
	v_add_f16_e32 v93, v25, v44
	v_add3_u32 v5, 0, v5, v29
	v_mul_u32_u24_sdwa v43, v43, v102 dst_sel:DWORD dst_unused:UNUSED_PAD src0_sel:WORD_0 src1_sel:DWORD
	v_add_f16_e32 v94, v42, v38
	v_add3_u32 v45, 0, v18, v45
	v_add_f16_e32 v18, v91, v49
	v_fmamk_f16 v69, v31, 0xbaee, v52
	v_fmac_f16_e32 v52, 0x3aee, v31
	v_fmamk_f16 v31, v32, 0x3aee, v26
	v_fmac_f16_e32 v25, -0.5, v33
	v_sub_f16_e32 v33, v81, v82
	v_fmac_f16_e32 v26, 0xbaee, v32
	v_fmac_f16_e32 v61, v83, v64
	ds_read_u16 v64, v6 offset:126
	ds_read_u16 v83, v6 offset:252
	;; [unrolled: 1-line block ×7, first 2 shown]
	s_waitcnt lgkmcnt(0)
	s_barrier
	buffer_gl0_inv
	ds_write_b16 v5, v30
	v_add3_u32 v43, 0, v43, v65
	v_add_f16_e32 v30, v93, v40
	v_add_f16_e32 v95, v53, v35
	;; [unrolled: 1-line block ×3, first 2 shown]
	ds_write_b16 v5, v67 offset:54
	ds_write_b16 v5, v27 offset:108
	ds_write_b16 v45, v18
	ds_write_b16 v45, v31 offset:54
	ds_write_b16 v45, v26 offset:108
	ds_write_b16 v43, v30
	v_lshlrev_b32_sdwa v18, v14, v70 dst_sel:DWORD dst_unused:UNUSED_PAD src0_sel:DWORD src1_sel:BYTE_0
	v_mul_u32_u24_sdwa v26, v46, v102 dst_sel:DWORD dst_unused:UNUSED_PAD src0_sel:WORD_0 src1_sel:DWORD
	v_fmac_f16_e32 v24, -0.5, v94
	v_sub_f16_e32 v94, v50, v51
	v_lshlrev_b32_sdwa v27, v14, v73 dst_sel:DWORD dst_unused:UNUSED_PAD src0_sel:DWORD src1_sel:WORD_0
	v_mul_u32_u24_sdwa v30, v71, v102 dst_sel:DWORD dst_unused:UNUSED_PAD src0_sel:WORD_0 src1_sel:DWORD
	v_fmamk_f16 v32, v33, 0x3aee, v25
	v_add_f16_e32 v97, v23, v53
	v_add_f16_e32 v98, v36, v54
	v_fmac_f16_e32 v25, 0xbaee, v33
	v_fmac_f16_e32 v23, -0.5, v95
	v_sub_f16_e32 v95, v41, v68
	v_add3_u32 v46, 0, v26, v18
	v_add_f16_e32 v18, v96, v38
	v_fmamk_f16 v33, v94, 0x3aee, v24
	v_fmac_f16_e32 v24, 0xbaee, v94
	v_add_f16_e32 v100, v22, v36
	v_add3_u32 v65, 0, v30, v27
	v_lshlrev_b32_sdwa v26, v14, v75 dst_sel:DWORD dst_unused:UNUSED_PAD src0_sel:DWORD src1_sel:WORD_0
	v_mul_u32_u24_sdwa v27, v72, v102 dst_sel:DWORD dst_unused:UNUSED_PAD src0_sel:WORD_0 src1_sel:DWORD
	v_fmac_f16_e32 v22, -0.5, v98
	v_sub_f16_e32 v98, v85, v55
	ds_write_b16 v43, v32 offset:54
	ds_write_b16 v43, v25 offset:108
	v_add_f16_e32 v25, v97, v35
	v_add_f16_e32 v99, v56, v58
	v_fmamk_f16 v94, v95, 0x3aee, v23
	v_add_f16_e32 v101, v20, v56
	ds_write_b16 v46, v18
	ds_write_b16 v46, v33 offset:54
	ds_write_b16 v46, v24 offset:108
	ds_write_b16 v65, v25
	v_lshlrev_b32_sdwa v24, v14, v77 dst_sel:DWORD dst_unused:UNUSED_PAD src0_sel:DWORD src1_sel:WORD_0
	v_mul_u32_u24_sdwa v25, v74, v102 dst_sel:DWORD dst_unused:UNUSED_PAD src0_sel:WORD_0 src1_sel:DWORD
	v_fmac_f16_e32 v23, 0xbaee, v95
	v_add3_u32 v67, 0, v27, v26
	v_add_f16_e32 v18, v100, v54
	v_fmamk_f16 v95, v98, 0x3aee, v22
	v_fmac_f16_e32 v22, 0xbaee, v98
	v_add_f16_e32 v104, v62, v63
	v_fmac_f16_e32 v20, -0.5, v99
	v_sub_f16_e32 v99, v57, v39
	ds_write_b16 v65, v94 offset:54
	ds_write_b16 v65, v23 offset:108
	ds_write_b16 v67, v18
	ds_write_b16 v67, v95 offset:54
	v_add3_u32 v70, 0, v25, v24
	v_add_f16_e32 v18, v101, v58
	v_lshlrev_b32_sdwa v23, v14, v78 dst_sel:DWORD dst_unused:UNUSED_PAD src0_sel:DWORD src1_sel:WORD_0
	v_mul_u32_u24_sdwa v24, v76, v102 dst_sel:DWORD dst_unused:UNUSED_PAD src0_sel:WORD_0 src1_sel:DWORD
	v_sub_f16_e32 v105, v59, v87
	v_add_f16_e32 v106, v21, v62
	v_fmac_f16_e32 v21, -0.5, v104
	v_sub_f16_e32 v104, v60, v61
	ds_write_b16 v67, v22 offset:108
	v_mul_u32_u24_sdwa v22, v79, v102 dst_sel:DWORD dst_unused:UNUSED_PAD src0_sel:WORD_0 src1_sel:DWORD
	v_lshlrev_b32_sdwa v25, v14, v80 dst_sel:DWORD dst_unused:UNUSED_PAD src0_sel:DWORD src1_sel:WORD_0
	v_fmamk_f16 v98, v99, 0x3aee, v20
	v_fmac_f16_e32 v20, 0xbaee, v99
	ds_write_b16 v70, v18
	v_add3_u32 v71, 0, v24, v23
	v_add_f16_e32 v18, v103, v37
	v_fmamk_f16 v99, v105, 0x3aee, v19
	v_fmac_f16_e32 v19, 0xbaee, v105
	v_fmamk_f16 v29, v104, 0x3aee, v21
	v_fmac_f16_e32 v21, 0xbaee, v104
	v_add3_u32 v72, 0, v22, v25
	v_add_f16_e32 v22, v106, v63
	v_add_f16_e32 v76, v90, v66
	ds_write_b16 v70, v98 offset:54
	ds_write_b16 v70, v20 offset:108
	ds_write_b16 v71, v18
	ds_write_b16 v71, v99 offset:54
	ds_write_b16 v71, v19 offset:108
	ds_write_b16 v72, v22
	ds_write_b16 v72, v29 offset:54
	ds_write_b16 v72, v21 offset:108
	s_waitcnt lgkmcnt(0)
	s_barrier
	buffer_gl0_inv
	ds_read_u16 v75, v6 offset:2520
	ds_read_u16 v78, v6 offset:2646
	;; [unrolled: 1-line block ×9, first 2 shown]
	ds_read_u16 v26, v6
	ds_read_u16 v25, v6 offset:126
	ds_read_u16 v24, v6 offset:252
	;; [unrolled: 1-line block ×17, first 2 shown]
	s_waitcnt lgkmcnt(0)
	s_barrier
	buffer_gl0_inv
	ds_write_b16 v5, v47
	v_add_f16_e32 v47, v64, v90
	v_fmac_f16_e32 v64, -0.5, v76
	v_sub_f16_e32 v48, v48, v49
	ds_write_b16 v5, v69 offset:54
	ds_write_b16 v5, v52 offset:108
	v_sub_f16_e32 v38, v42, v38
	v_add_f16_e32 v5, v47, v66
	v_add_f16_e32 v47, v81, v82
	v_fmamk_f16 v49, v48, 0xbaee, v64
	v_fmac_f16_e32 v64, 0x3aee, v48
	v_add_f16_e32 v48, v83, v81
	ds_write_b16 v45, v5
	v_fmac_f16_e32 v83, -0.5, v47
	v_sub_f16_e32 v5, v44, v40
	v_add_f16_e32 v44, v50, v51
	v_add_f16_e32 v40, v48, v82
	ds_write_b16 v45, v49 offset:54
	ds_write_b16 v45, v64 offset:108
	v_fmamk_f16 v45, v5, 0xbaee, v83
	v_fmac_f16_e32 v83, 0x3aee, v5
	v_add_f16_e32 v5, v84, v50
	ds_write_b16 v43, v40
	v_fmac_f16_e32 v84, -0.5, v44
	v_add_f16_e32 v40, v41, v68
	v_add_f16_e32 v41, v86, v41
	v_add_f16_e32 v5, v5, v51
	v_sub_f16_e32 v35, v53, v35
	v_fmamk_f16 v42, v38, 0xbaee, v84
	v_fmac_f16_e32 v86, -0.5, v40
	v_fmac_f16_e32 v84, 0x3aee, v38
	ds_write_b16 v43, v45 offset:54
	ds_write_b16 v43, v83 offset:108
	ds_write_b16 v46, v5
	v_add_f16_e32 v5, v41, v68
	ds_write_b16 v46, v42 offset:54
	v_fmamk_f16 v38, v35, 0xbaee, v86
	ds_write_b16 v46, v84 offset:108
	ds_write_b16 v65, v5
	v_add_f16_e32 v5, v85, v55
	v_fmac_f16_e32 v86, 0x3aee, v35
	ds_write_b16 v65, v38 offset:54
	ds_write_b16 v65, v86 offset:108
	v_add_f16_e32 v35, v57, v39
	v_add_f16_e32 v38, v88, v85
	v_fmac_f16_e32 v88, -0.5, v5
	v_sub_f16_e32 v5, v36, v54
	v_add_f16_e32 v36, v89, v57
	v_fmac_f16_e32 v89, -0.5, v35
	v_sub_f16_e32 v35, v56, v58
	v_add_f16_e32 v41, v92, v59
	v_fmamk_f16 v40, v5, 0xbaee, v88
	v_fmac_f16_e32 v88, 0x3aee, v5
	v_add_f16_e32 v5, v59, v87
	v_add_f16_e32 v36, v36, v39
	v_fmamk_f16 v39, v35, 0xbaee, v89
	v_fmac_f16_e32 v89, 0x3aee, v35
	v_add_f16_e32 v35, v60, v61
	v_fmac_f16_e32 v92, -0.5, v5
	v_sub_f16_e32 v5, v34, v37
	v_add_f16_e32 v34, v28, v60
	v_add_f16_e32 v37, v41, v87
	v_fmac_f16_e32 v28, -0.5, v35
	v_sub_f16_e32 v35, v62, v63
	v_fmamk_f16 v41, v5, 0xbaee, v92
	v_fmac_f16_e32 v92, 0x3aee, v5
	v_mov_b32_e32 v5, 0
	v_add_f16_e32 v42, v34, v61
	v_fmamk_f16 v43, v35, 0xbaee, v28
	v_fmac_f16_e32 v28, 0x3aee, v35
	v_add_f16_e32 v38, v38, v55
	v_lshlrev_b64 v[34:35], 2, v[4:5]
	v_subrev_nc_u32_e32 v4, 18, v0
	ds_write_b16 v67, v38
	ds_write_b16 v67, v40 offset:54
	ds_write_b16 v67, v88 offset:108
	ds_write_b16 v70, v36
	ds_write_b16 v70, v39 offset:54
	ds_write_b16 v70, v89 offset:108
	ds_write_b16 v71, v37
	v_add_co_u32 v34, s0, s8, v34
	v_add_co_ci_u32_e64 v35, s0, s9, v35, s0
	v_cmp_gt_u32_e64 s0, 18, v0
	ds_write_b16 v71, v41 offset:54
	ds_write_b16 v71, v92 offset:108
	ds_write_b16 v72, v42
	ds_write_b16 v72, v43 offset:54
	ds_write_b16 v72, v28 offset:108
	s_waitcnt lgkmcnt(0)
	s_barrier
	v_cndmask_b32_e64 v4, v4, v17, s0
	v_mov_b32_e32 v17, 0x6523
	buffer_gl0_inv
	global_load_dwordx2 v[34:35], v[34:35], off offset:312
	v_lshlrev_b32_e32 v4, 1, v4
	v_mul_u32_u24_sdwa v28, v11, v17 dst_sel:DWORD dst_unused:UNUSED_PAD src0_sel:WORD_0 src1_sel:DWORD
	v_mul_u32_u24_sdwa v40, v10, v17 dst_sel:DWORD dst_unused:UNUSED_PAD src0_sel:WORD_0 src1_sel:DWORD
	v_lshlrev_b64 v[36:37], 2, v[4:5]
	v_mul_lo_u16 v5, 0x51, v16
	v_lshrrev_b32_e32 v87, 21, v40
	v_sub_nc_u16 v81, v1, v5
	v_lshrrev_b32_e32 v5, 21, v28
	v_mul_lo_u16 v28, 0x51, v15
	v_add_co_u32 v36, s0, s8, v36
	v_add_co_ci_u32_e64 v37, s0, s9, v37, s0
	v_mul_lo_u16 v5, 0x51, v5
	v_sub_nc_u16 v28, v8, v28
	v_lshlrev_b32_sdwa v38, v7, v81 dst_sel:DWORD dst_unused:UNUSED_PAD src0_sel:DWORD src1_sel:BYTE_0
	global_load_dwordx2 v[36:37], v[36:37], off offset:312
	v_cmp_lt_u32_e64 s0, 17, v0
	v_sub_nc_u16 v5, v11, v5
	v_lshlrev_b32_sdwa v11, v7, v28 dst_sel:DWORD dst_unused:UNUSED_PAD src0_sel:DWORD src1_sel:BYTE_0
	global_load_dwordx2 v[38:39], v38, s[8:9] offset:312
	v_and_b32_e32 v86, 0xffff, v5
	global_load_dwordx2 v[40:41], v11, s[8:9] offset:312
	v_mul_lo_u16 v5, 0x51, v87
	v_mul_u32_u24_sdwa v11, v9, v17 dst_sel:DWORD dst_unused:UNUSED_PAD src0_sel:WORD_0 src1_sel:DWORD
	v_lshlrev_b32_e32 v42, 3, v86
	v_lshl_add_u32 v86, v86, 1, 0
	v_sub_nc_u16 v82, v10, v5
	v_lshrrev_b32_e32 v88, 21, v11
	v_mul_u32_u24_sdwa v5, v12, v17 dst_sel:DWORD dst_unused:UNUSED_PAD src0_sel:WORD_0 src1_sel:DWORD
	global_load_dwordx2 v[10:11], v42, s[8:9] offset:312
	v_mul_lo_u16 v44, 0x51, v88
	v_lshrrev_b32_e32 v89, 21, v5
	v_mul_u32_u24_sdwa v5, v13, v17 dst_sel:DWORD dst_unused:UNUSED_PAD src0_sel:WORD_0 src1_sel:DWORD
	v_sub_nc_u16 v83, v9, v44
	v_mul_lo_u16 v9, 0x51, v89
	v_lshrrev_b32_e32 v5, 21, v5
	v_lshlrev_b32_sdwa v17, v7, v83 dst_sel:DWORD dst_unused:UNUSED_PAD src0_sel:DWORD src1_sel:WORD_0
	v_sub_nc_u16 v84, v12, v9
	v_mul_lo_u16 v5, 0x51, v5
	global_load_dwordx2 v[44:45], v17, s[8:9] offset:312
	v_lshlrev_b32_sdwa v42, v7, v82 dst_sel:DWORD dst_unused:UNUSED_PAD src0_sel:DWORD src1_sel:WORD_0
	v_sub_nc_u16 v5, v13, v5
	v_lshlrev_b32_sdwa v7, v7, v84 dst_sel:DWORD dst_unused:UNUSED_PAD src0_sel:DWORD src1_sel:WORD_0
	global_load_dwordx2 v[42:43], v42, s[8:9] offset:312
	v_and_b32_e32 v90, 0xffff, v5
	global_load_dwordx2 v[12:13], v7, s[8:9] offset:312
	v_lshlrev_b32_e32 v5, 3, v90
	global_load_dwordx2 v[76:77], v5, s[8:9] offset:312
	ds_read_u16 v5, v6 offset:1134
	ds_read_u16 v7, v6 offset:2268
	;; [unrolled: 1-line block ×15, first 2 shown]
	s_waitcnt vmcnt(8)
	v_mul_f16_sdwa v71, v73, v34 dst_sel:DWORD dst_unused:UNUSED_PAD src0_sel:DWORD src1_sel:WORD_1
	s_waitcnt lgkmcnt(14)
	v_mul_f16_sdwa v52, v5, v34 dst_sel:DWORD dst_unused:UNUSED_PAD src0_sel:DWORD src1_sel:WORD_1
	s_waitcnt lgkmcnt(13)
	v_mul_f16_sdwa v55, v7, v35 dst_sel:DWORD dst_unused:UNUSED_PAD src0_sel:DWORD src1_sel:WORD_1
	v_mul_f16_sdwa v61, v74, v35 dst_sel:DWORD dst_unused:UNUSED_PAD src0_sel:DWORD src1_sel:WORD_1
	v_fmac_f16_e32 v71, v5, v34
	v_fma_f16 v73, v73, v34, -v52
	v_fma_f16 v74, v74, v35, -v55
	v_fmac_f16_e32 v61, v7, v35
	ds_read_u16 v35, v6 offset:3150
	s_waitcnt vmcnt(7) lgkmcnt(13)
	v_mul_f16_sdwa v5, v17, v36 dst_sel:DWORD dst_unused:UNUSED_PAD src0_sel:DWORD src1_sel:WORD_1
	v_mul_f16_sdwa v72, v94, v36 dst_sel:DWORD dst_unused:UNUSED_PAD src0_sel:DWORD src1_sel:WORD_1
	s_waitcnt lgkmcnt(12)
	v_mul_f16_sdwa v34, v46, v37 dst_sel:DWORD dst_unused:UNUSED_PAD src0_sel:DWORD src1_sel:WORD_1
	v_mul_f16_sdwa v65, v95, v37 dst_sel:DWORD dst_unused:UNUSED_PAD src0_sel:DWORD src1_sel:WORD_1
	s_waitcnt vmcnt(6) lgkmcnt(5)
	v_mul_f16_sdwa v7, v53, v39 dst_sel:DWORD dst_unused:UNUSED_PAD src0_sel:DWORD src1_sel:WORD_1
	v_fma_f16 v64, v94, v36, -v5
	v_mul_f16_sdwa v5, v47, v38 dst_sel:DWORD dst_unused:UNUSED_PAD src0_sel:DWORD src1_sel:WORD_1
	v_fmac_f16_e32 v72, v17, v36
	ds_read_u16 v17, v6 offset:3024
	v_fma_f16 v67, v95, v37, -v34
	v_fma_f16 v70, v75, v39, -v7
	;; [unrolled: 1-line block ×3, first 2 shown]
	s_waitcnt vmcnt(5)
	v_mul_f16_sdwa v5, v48, v40 dst_sel:DWORD dst_unused:UNUSED_PAD src0_sel:DWORD src1_sel:WORD_1
	s_waitcnt lgkmcnt(5)
	v_mul_f16_sdwa v7, v54, v41 dst_sel:DWORD dst_unused:UNUSED_PAD src0_sel:DWORD src1_sel:WORD_1
	v_mul_f16_sdwa v68, v79, v38 dst_sel:DWORD dst_unused:UNUSED_PAD src0_sel:DWORD src1_sel:WORD_1
	;; [unrolled: 1-line block ×3, first 2 shown]
	v_fmac_f16_e32 v65, v46, v37
	v_fma_f16 v55, v80, v40, -v5
	s_waitcnt vmcnt(4)
	v_mul_f16_sdwa v5, v49, v10 dst_sel:DWORD dst_unused:UNUSED_PAD src0_sel:DWORD src1_sel:WORD_1
	v_mul_f16_sdwa v60, v91, v10 dst_sel:DWORD dst_unused:UNUSED_PAD src0_sel:DWORD src1_sel:WORD_1
	v_fma_f16 v59, v78, v41, -v7
	v_mul_f16_sdwa v58, v33, v11 dst_sel:DWORD dst_unused:UNUSED_PAD src0_sel:DWORD src1_sel:WORD_1
	v_fmac_f16_e32 v68, v47, v38
	v_fma_f16 v57, v91, v10, -v5
	v_fmac_f16_e32 v60, v49, v10
	ds_read_u16 v10, v6 offset:3276
	ds_read_u16 v34, v6 offset:2016
	s_waitcnt lgkmcnt(6)
	v_mul_f16_sdwa v5, v85, v11 dst_sel:DWORD dst_unused:UNUSED_PAD src0_sel:DWORD src1_sel:WORD_1
	v_fmac_f16_e32 v58, v85, v11
	v_fmac_f16_e32 v66, v53, v39
	v_mul_f16_sdwa v62, v80, v40 dst_sel:DWORD dst_unused:UNUSED_PAD src0_sel:DWORD src1_sel:WORD_1
	v_mul_f16_sdwa v56, v78, v41 dst_sel:DWORD dst_unused:UNUSED_PAD src0_sel:DWORD src1_sel:WORD_1
	v_fma_f16 v63, v33, v11, -v5
	v_add_f16_e32 v38, v22, v57
	v_mov_b32_e32 v85, 0x1e6
	s_waitcnt vmcnt(3)
	v_mul_f16_sdwa v49, v31, v44 dst_sel:DWORD dst_unused:UNUSED_PAD src0_sel:DWORD src1_sel:WORD_1
	s_waitcnt lgkmcnt(2)
	v_mul_f16_sdwa v11, v17, v45 dst_sel:DWORD dst_unused:UNUSED_PAD src0_sel:DWORD src1_sel:WORD_1
	v_fmac_f16_e32 v62, v48, v40
	v_fmac_f16_e32 v56, v54, v41
	v_mul_u32_u24_sdwa v16, v16, v85 dst_sel:DWORD dst_unused:UNUSED_PAD src0_sel:WORD_0 src1_sel:DWORD
	v_fmac_f16_e32 v49, v51, v44
	s_waitcnt vmcnt(2)
	v_mul_f16_sdwa v7, v50, v42 dst_sel:DWORD dst_unused:UNUSED_PAD src0_sel:DWORD src1_sel:WORD_1
	v_mul_f16_sdwa v52, v93, v42 dst_sel:DWORD dst_unused:UNUSED_PAD src0_sel:DWORD src1_sel:WORD_1
	v_fma_f16 v53, v96, v45, -v11
	v_mul_f16_sdwa v5, v92, v43 dst_sel:DWORD dst_unused:UNUSED_PAD src0_sel:DWORD src1_sel:WORD_1
	v_mul_f16_sdwa v48, v30, v43 dst_sel:DWORD dst_unused:UNUSED_PAD src0_sel:DWORD src1_sel:WORD_1
	v_fma_f16 v47, v93, v42, -v7
	v_mul_f16_sdwa v7, v51, v44 dst_sel:DWORD dst_unused:UNUSED_PAD src0_sel:DWORD src1_sel:WORD_1
	v_mul_f16_sdwa v51, v96, v45 dst_sel:DWORD dst_unused:UNUSED_PAD src0_sel:DWORD src1_sel:WORD_1
	v_fmac_f16_e32 v52, v50, v42
	s_waitcnt vmcnt(1) lgkmcnt(0)
	v_mul_f16_sdwa v11, v34, v12 dst_sel:DWORD dst_unused:UNUSED_PAD src0_sel:DWORD src1_sel:WORD_1
	v_fma_f16 v54, v30, v43, -v5
	v_fma_f16 v50, v31, v44, -v7
	v_mul_f16_sdwa v7, v32, v12 dst_sel:DWORD dst_unused:UNUSED_PAD src0_sel:DWORD src1_sel:WORD_1
	v_fmac_f16_e32 v51, v17, v45
	s_waitcnt vmcnt(0)
	v_mul_f16_sdwa v45, v29, v77 dst_sel:DWORD dst_unused:UNUSED_PAD src0_sel:DWORD src1_sel:WORD_1
	v_fma_f16 v17, v32, v12, -v11
	v_mul_f16_sdwa v11, v98, v76 dst_sel:DWORD dst_unused:UNUSED_PAD src0_sel:DWORD src1_sel:WORD_1
	v_fmac_f16_e32 v7, v34, v12
	v_mul_f16_sdwa v46, v27, v76 dst_sel:DWORD dst_unused:UNUSED_PAD src0_sel:DWORD src1_sel:WORD_1
	v_mul_f16_sdwa v12, v10, v77 dst_sel:DWORD dst_unused:UNUSED_PAD src0_sel:DWORD src1_sel:WORD_1
	v_fmac_f16_e32 v45, v10, v77
	v_add_f16_e32 v10, v73, v74
	v_mul_f16_sdwa v30, v35, v13 dst_sel:DWORD dst_unused:UNUSED_PAD src0_sel:DWORD src1_sel:WORD_1
	v_fma_f16 v75, v27, v76, -v11
	v_fmac_f16_e32 v46, v98, v76
	v_fma_f16 v76, v29, v77, -v12
	v_add_f16_e32 v11, v64, v67
	v_add_f16_e32 v12, v26, v73
	v_fmac_f16_e32 v26, -0.5, v10
	v_sub_f16_e32 v10, v71, v61
	v_mul_f16_sdwa v5, v97, v13 dst_sel:DWORD dst_unused:UNUSED_PAD src0_sel:DWORD src1_sel:WORD_1
	v_fma_f16 v44, v97, v13, -v30
	v_add_f16_e32 v30, v25, v64
	v_fmac_f16_e32 v25, -0.5, v11
	v_sub_f16_e32 v11, v72, v65
	v_fmamk_f16 v31, v10, 0x3aee, v26
	v_add_f16_e32 v32, v69, v70
	v_fmac_f16_e32 v26, 0xbaee, v10
	v_add_f16_e32 v10, v55, v59
	v_fmac_f16_e32 v48, v92, v43
	v_fmac_f16_e32 v5, v35, v13
	v_fmamk_f16 v33, v11, 0x3aee, v25
	v_add_f16_e32 v34, v24, v69
	v_fmac_f16_e32 v24, -0.5, v32
	v_sub_f16_e32 v32, v68, v66
	v_add_f16_e32 v35, v23, v55
	v_fmac_f16_e32 v23, -0.5, v10
	v_sub_f16_e32 v10, v62, v56
	v_fmac_f16_e32 v25, 0xbaee, v11
	v_add_f16_e32 v11, v57, v63
	v_add_f16_e32 v37, v47, v54
	v_fmamk_f16 v36, v32, 0x3aee, v24
	v_fmac_f16_e32 v24, 0xbaee, v32
	v_fmamk_f16 v32, v10, 0x3aee, v23
	v_fmac_f16_e32 v22, -0.5, v11
	v_sub_f16_e32 v11, v60, v58
	v_add_f16_e32 v39, v21, v47
	v_fmac_f16_e32 v21, -0.5, v37
	v_sub_f16_e32 v37, v52, v48
	v_fmac_f16_e32 v23, 0xbaee, v10
	v_add_f16_e32 v10, v50, v53
	v_add_f16_e32 v42, v75, v76
	v_cndmask_b32_e64 v13, 0, 0x1e6, s0
	v_fmamk_f16 v40, v11, 0x3aee, v22
	v_fmac_f16_e32 v22, 0xbaee, v11
	v_fmamk_f16 v41, v37, 0x3aee, v21
	v_fmac_f16_e32 v21, 0xbaee, v37
	v_add_f16_e32 v37, v20, v50
	v_add_f16_e32 v11, v17, v44
	v_fmac_f16_e32 v20, -0.5, v10
	v_sub_f16_e32 v10, v49, v51
	v_add_f16_e32 v91, v19, v75
	v_fmac_f16_e32 v19, -0.5, v42
	v_sub_f16_e32 v42, v46, v45
	v_add3_u32 v4, 0, v13, v4
	v_lshlrev_b32_sdwa v13, v14, v81 dst_sel:DWORD dst_unused:UNUSED_PAD src0_sel:DWORD src1_sel:BYTE_0
	v_lshlrev_b32_sdwa v27, v14, v28 dst_sel:DWORD dst_unused:UNUSED_PAD src0_sel:DWORD src1_sel:BYTE_0
	v_add_f16_e32 v43, v18, v17
	v_fmac_f16_e32 v18, -0.5, v11
	v_sub_f16_e32 v77, v7, v5
	v_fmamk_f16 v92, v10, 0x3aee, v20
	v_fmac_f16_e32 v20, 0xbaee, v10
	v_fmamk_f16 v10, v42, 0x3aee, v19
	v_fmac_f16_e32 v19, 0xbaee, v42
	v_add_f16_e32 v42, v12, v74
	v_add_f16_e32 v30, v30, v67
	v_mul_u32_u24_sdwa v15, v15, v85 dst_sel:DWORD dst_unused:UNUSED_PAD src0_sel:WORD_0 src1_sel:DWORD
	v_lshlrev_b32_sdwa v28, v14, v82 dst_sel:DWORD dst_unused:UNUSED_PAD src0_sel:DWORD src1_sel:WORD_0
	v_lshlrev_b32_sdwa v29, v14, v83 dst_sel:DWORD dst_unused:UNUSED_PAD src0_sel:DWORD src1_sel:WORD_0
	;; [unrolled: 1-line block ×3, first 2 shown]
	v_add3_u32 v84, 0, v16, v13
	v_add_f16_e32 v13, v34, v70
	v_fmamk_f16 v11, v77, 0x3aee, v18
	v_fmac_f16_e32 v18, 0xbaee, v77
	ds_read_u16 v83, v6
	ds_read_u16 v82, v6 offset:126
	ds_read_u16 v81, v6 offset:252
	;; [unrolled: 1-line block ×7, first 2 shown]
	s_waitcnt lgkmcnt(0)
	s_barrier
	buffer_gl0_inv
	ds_write_b16 v6, v42
	ds_write_b16 v6, v31 offset:162
	ds_write_b16 v6, v26 offset:324
	ds_write_b16 v4, v30
	ds_write_b16 v4, v33 offset:162
	ds_write_b16 v4, v25 offset:324
	ds_write_b16 v84, v13
	v_add3_u32 v85, 0, v15, v27
	v_add_f16_e32 v13, v35, v59
	v_add_f16_e32 v15, v38, v63
	ds_write_b16 v84, v36 offset:162
	ds_write_b16 v84, v24 offset:324
	ds_write_b16 v85, v13
	ds_write_b16 v85, v32 offset:162
	v_mul_u32_u24_e32 v13, 0x1e6, v87
	ds_write_b16 v85, v23 offset:324
	ds_write_b16 v86, v15 offset:1458
	v_mul_u32_u24_e32 v15, 0x1e6, v88
	v_mul_u32_u24_e32 v16, 0x1e6, v89
	ds_write_b16 v86, v22 offset:1782
	v_add3_u32 v87, 0, v13, v28
	v_add_f16_e32 v13, v39, v54
	v_add3_u32 v22, 0, v15, v29
	v_add_f16_e32 v15, v37, v53
	ds_write_b16 v86, v40 offset:1620
	ds_write_b16 v87, v13
	ds_write_b16 v87, v41 offset:162
	ds_write_b16 v87, v21 offset:324
	ds_write_b16 v22, v15
	v_add3_u32 v88, 0, v16, v14
	v_add_f16_e32 v13, v43, v44
	v_add_f16_e32 v14, v91, v76
	v_lshl_add_u32 v89, v90, 1, 0
	ds_write_b16 v22, v92 offset:162
	ds_write_b16 v22, v20 offset:324
	ds_write_b16 v88, v13
	ds_write_b16 v88, v11 offset:162
	ds_write_b16 v88, v18 offset:324
	;; [unrolled: 1-line block ×5, first 2 shown]
	s_waitcnt lgkmcnt(0)
	s_barrier
	buffer_gl0_inv
	ds_read_u16 v25, v6
	ds_read_u16 v23, v6 offset:126
	ds_read_u16 v26, v6 offset:2556
	;; [unrolled: 1-line block ×20, first 2 shown]
	v_cmp_gt_u32_e64 s0, 54, v0
                                        ; implicit-def: $vgpr15
	s_and_saveexec_b32 s1, s0
	s_cbranch_execz .LBB0_13
; %bb.12:
	ds_read_u16 v13, v6 offset:378
	ds_read_u16 v11, v6 offset:864
	;; [unrolled: 1-line block ×7, first 2 shown]
.LBB0_13:
	s_or_b32 exec_lo, exec_lo, s1
	v_add_f16_e32 v16, v71, v61
	v_add_f16_e32 v20, v83, v71
	;; [unrolled: 1-line block ×3, first 2 shown]
	v_sub_f16_e32 v21, v73, v74
	v_sub_f16_e32 v17, v17, v44
	v_fmac_f16_e32 v83, -0.5, v16
	v_add_f16_e32 v16, v82, v72
	v_add_f16_e32 v72, v68, v66
	;; [unrolled: 1-line block ×3, first 2 shown]
	v_fmac_f16_e32 v82, -0.5, v71
	v_sub_f16_e32 v20, v64, v67
	v_add_f16_e32 v64, v16, v65
	v_add_f16_e32 v16, v81, v68
	v_fmamk_f16 v71, v21, 0xbaee, v83
	v_fmac_f16_e32 v83, 0x3aee, v21
	v_fmac_f16_e32 v81, -0.5, v72
	v_sub_f16_e32 v21, v69, v70
	v_fmamk_f16 v65, v20, 0xbaee, v82
	v_fmac_f16_e32 v82, 0x3aee, v20
	v_add_f16_e32 v66, v16, v66
	v_add_f16_e32 v16, v62, v56
	;; [unrolled: 1-line block ×3, first 2 shown]
	v_fmamk_f16 v67, v21, 0xbaee, v81
	v_fmac_f16_e32 v81, 0x3aee, v21
	v_add_f16_e32 v21, v60, v58
	v_fmac_f16_e32 v80, -0.5, v16
	v_sub_f16_e32 v16, v55, v59
	v_add_f16_e32 v55, v20, v56
	v_add_f16_e32 v20, v79, v60
	v_fmac_f16_e32 v79, -0.5, v21
	v_sub_f16_e32 v21, v57, v63
	v_fmamk_f16 v56, v16, 0xbaee, v80
	v_fmac_f16_e32 v80, 0x3aee, v16
	v_add_f16_e32 v57, v20, v58
	v_add_f16_e32 v16, v52, v48
	;; [unrolled: 1-line block ×3, first 2 shown]
	v_fmamk_f16 v58, v21, 0xbaee, v79
	v_fmac_f16_e32 v79, 0x3aee, v21
	v_add_f16_e32 v21, v49, v51
	v_fmac_f16_e32 v78, -0.5, v16
	v_sub_f16_e32 v16, v47, v54
	v_add_f16_e32 v47, v20, v48
	v_add_f16_e32 v20, v77, v49
	v_fmac_f16_e32 v77, -0.5, v21
	v_sub_f16_e32 v21, v50, v53
	v_fmamk_f16 v48, v16, 0xbaee, v78
	v_fmac_f16_e32 v78, 0x3aee, v16
	v_add_f16_e32 v49, v20, v51
	v_add_f16_e32 v16, v7, v5
	;; [unrolled: 1-line block ×3, first 2 shown]
	v_fmamk_f16 v50, v21, 0xbaee, v77
	v_fmac_f16_e32 v77, 0x3aee, v21
	v_add_f16_e32 v7, v12, v7
	v_fmac_f16_e32 v12, -0.5, v16
	v_add_f16_e32 v21, v9, v46
	v_fmac_f16_e32 v9, -0.5, v20
	v_sub_f16_e32 v44, v75, v76
	v_add_f16_e32 v16, v7, v5
	v_fmamk_f16 v20, v17, 0xbaee, v12
	v_fmac_f16_e32 v12, 0x3aee, v17
	v_add_f16_e32 v21, v21, v45
	v_fmamk_f16 v17, v44, 0xbaee, v9
	v_fmac_f16_e32 v9, 0x3aee, v44
	s_waitcnt lgkmcnt(0)
	s_barrier
	buffer_gl0_inv
	ds_write_b16 v6, v61
	ds_write_b16 v6, v71 offset:162
	ds_write_b16 v6, v83 offset:324
	ds_write_b16 v4, v64
	ds_write_b16 v4, v65 offset:162
	ds_write_b16 v4, v82 offset:324
	;; [unrolled: 3-line block ×4, first 2 shown]
	ds_write_b16 v86, v57 offset:1458
	ds_write_b16 v86, v58 offset:1620
	;; [unrolled: 1-line block ×3, first 2 shown]
	ds_write_b16 v87, v47
	ds_write_b16 v87, v48 offset:162
	ds_write_b16 v87, v78 offset:324
	ds_write_b16 v22, v49
	ds_write_b16 v22, v50 offset:162
	ds_write_b16 v22, v77 offset:324
	;; [unrolled: 3-line block ×3, first 2 shown]
	ds_write_b16 v89, v21 offset:2916
	ds_write_b16 v89, v17 offset:3078
	;; [unrolled: 1-line block ×3, first 2 shown]
	s_waitcnt lgkmcnt(0)
	s_barrier
	buffer_gl0_inv
	ds_read_u16 v45, v6
	ds_read_u16 v44, v6 offset:126
	ds_read_u16 v48, v6 offset:612
	;; [unrolled: 1-line block ×20, first 2 shown]
                                        ; implicit-def: $vgpr22
	s_and_saveexec_b32 s1, s0
	s_cbranch_execz .LBB0_15
; %bb.14:
	ds_read_u16 v16, v6 offset:378
	ds_read_u16 v20, v6 offset:864
	;; [unrolled: 1-line block ×7, first 2 shown]
.LBB0_15:
	s_or_b32 exec_lo, exec_lo, s1
	s_and_saveexec_b32 s1, vcc_lo
	s_cbranch_execz .LBB0_18
; %bb.16:
	v_mul_u32_u24_e32 v4, 6, v0
	v_mul_hi_u32 v6, 0x86d90545, v1
	v_mov_b32_e32 v1, 0
	v_add_co_u32 v2, vcc_lo, s2, v2
	v_lshlrev_b32_e32 v4, 2, v4
	v_add_co_ci_u32_e32 v3, vcc_lo, s3, v3, vcc_lo
	v_mov_b32_e32 v7, v1
	v_lshrrev_b32_e32 v6, 7, v6
	s_clause 0x1
	global_load_dwordx4 v[65:68], v4, s[8:9] offset:960
	global_load_dwordx2 v[77:78], v4, s[8:9] offset:976
	v_add_nc_u32_e32 v5, 0xbd0, v4
	v_add_nc_u32_e32 v4, 0x5e8, v4
	s_clause 0x3
	global_load_dwordx4 v[69:72], v5, s[8:9] offset:960
	global_load_dwordx2 v[79:80], v5, s[8:9] offset:976
	global_load_dwordx4 v[73:76], v4, s[8:9] offset:960
	global_load_dwordx2 v[81:82], v4, s[8:9] offset:976
	v_lshlrev_b64 v[4:5], 2, v[0:1]
	v_mul_u32_u24_e32 v6, 0x5b2, v6
	v_lshlrev_b64 v[6:7], 2, v[6:7]
	v_add_co_u32 v2, vcc_lo, v2, v4
	v_add_co_ci_u32_e32 v3, vcc_lo, v3, v5, vcc_lo
	v_add_co_u32 v4, vcc_lo, 0x800, v2
	v_add_co_ci_u32_e32 v5, vcc_lo, 0, v3, vcc_lo
	;; [unrolled: 2-line block ×5, first 2 shown]
	s_waitcnt vmcnt(5) lgkmcnt(11)
	v_mul_f16_sdwa v87, v60, v65 dst_sel:DWORD dst_unused:UNUSED_PAD src0_sel:DWORD src1_sel:WORD_1
	s_waitcnt vmcnt(4) lgkmcnt(1)
	v_mul_f16_sdwa v88, v64, v78 dst_sel:DWORD dst_unused:UNUSED_PAD src0_sel:DWORD src1_sel:WORD_1
	v_mul_f16_sdwa v89, v62, v68 dst_sel:DWORD dst_unused:UNUSED_PAD src0_sel:DWORD src1_sel:WORD_1
	;; [unrolled: 1-line block ×11, first 2 shown]
	s_waitcnt vmcnt(3)
	v_mul_f16_sdwa v99, v53, v69 dst_sel:DWORD dst_unused:UNUSED_PAD src0_sel:DWORD src1_sel:WORD_1
	s_waitcnt vmcnt(2)
	v_mul_f16_sdwa v100, v61, v80 dst_sel:DWORD dst_unused:UNUSED_PAD src0_sel:DWORD src1_sel:WORD_1
	v_mul_f16_sdwa v101, v54, v72 dst_sel:DWORD dst_unused:UNUSED_PAD src0_sel:DWORD src1_sel:WORD_1
	;; [unrolled: 1-line block ×4, first 2 shown]
	s_waitcnt lgkmcnt(0)
	v_mul_f16_sdwa v104, v59, v79 dst_sel:DWORD dst_unused:UNUSED_PAD src0_sel:DWORD src1_sel:WORD_1
	v_mul_f16_sdwa v105, v38, v80 dst_sel:DWORD dst_unused:UNUSED_PAD src0_sel:DWORD src1_sel:WORD_1
	;; [unrolled: 1-line block ×7, first 2 shown]
	s_waitcnt vmcnt(1)
	v_mul_f16_sdwa v111, v48, v73 dst_sel:DWORD dst_unused:UNUSED_PAD src0_sel:DWORD src1_sel:WORD_1
	s_waitcnt vmcnt(0)
	v_mul_f16_sdwa v112, v52, v82 dst_sel:DWORD dst_unused:UNUSED_PAD src0_sel:DWORD src1_sel:WORD_1
	v_mul_f16_sdwa v113, v50, v76 dst_sel:DWORD dst_unused:UNUSED_PAD src0_sel:DWORD src1_sel:WORD_1
	v_mul_f16_sdwa v114, v49, v75 dst_sel:DWORD dst_unused:UNUSED_PAD src0_sel:DWORD src1_sel:WORD_1
	v_mul_f16_sdwa v115, v47, v74 dst_sel:DWORD dst_unused:UNUSED_PAD src0_sel:DWORD src1_sel:WORD_1
	v_fma_f16 v40, v40, v65, -v87
	v_mul_f16_sdwa v87, v51, v81 dst_sel:DWORD dst_unused:UNUSED_PAD src0_sel:DWORD src1_sel:WORD_1
	v_fma_f16 v43, v43, v78, -v88
	v_mul_f16_sdwa v88, v32, v82 dst_sel:DWORD dst_unused:UNUSED_PAD src0_sel:DWORD src1_sel:WORD_1
	;; [unrolled: 2-line block ×6, first 2 shown]
	v_fmac_f16_e32 v93, v64, v78
	v_mul_f16_sdwa v64, v27, v74 dst_sel:DWORD dst_unused:UNUSED_PAD src0_sel:DWORD src1_sel:WORD_1
	v_fmac_f16_e32 v94, v60, v65
	v_fmac_f16_e32 v97, v58, v77
	;; [unrolled: 1-line block ×5, first 2 shown]
	v_fma_f16 v31, v31, v69, -v99
	v_fma_f16 v38, v38, v80, -v100
	;; [unrolled: 1-line block ×6, first 2 shown]
	v_fmac_f16_e32 v105, v61, v80
	v_fmac_f16_e32 v106, v53, v69
	v_fmac_f16_e32 v107, v57, v71
	v_fmac_f16_e32 v108, v54, v72
	v_fmac_f16_e32 v109, v59, v79
	v_fmac_f16_e32 v110, v56, v70
	v_fma_f16 v28, v28, v73, -v111
	v_fma_f16 v32, v32, v82, -v112
	;; [unrolled: 1-line block ×6, first 2 shown]
	v_fmac_f16_e32 v88, v52, v82
	v_fmac_f16_e32 v89, v48, v73
	;; [unrolled: 1-line block ×6, first 2 shown]
	v_sub_f16_e32 v47, v40, v43
	v_sub_f16_e32 v49, v36, v39
	v_add_f16_e32 v50, v94, v93
	v_add_f16_e32 v52, v98, v97
	;; [unrolled: 1-line block ×4, first 2 shown]
	v_sub_f16_e32 v48, v41, v42
	v_add_f16_e32 v51, v96, v95
	v_add_f16_e32 v41, v41, v42
	v_sub_f16_e32 v39, v94, v93
	v_sub_f16_e32 v42, v96, v95
	;; [unrolled: 1-line block ×6, first 2 shown]
	v_add_f16_e32 v56, v106, v105
	v_add_f16_e32 v57, v108, v107
	;; [unrolled: 1-line block ×6, first 2 shown]
	v_sub_f16_e32 v35, v106, v105
	v_sub_f16_e32 v37, v108, v107
	;; [unrolled: 1-line block ×6, first 2 shown]
	v_add_f16_e32 v62, v89, v88
	v_add_f16_e32 v63, v91, v90
	;; [unrolled: 1-line block ×6, first 2 shown]
	v_sub_f16_e32 v27, v89, v88
	v_sub_f16_e32 v30, v91, v90
	;; [unrolled: 1-line block ×3, first 2 shown]
	v_add_f16_e32 v69, v50, v52
	v_add_f16_e32 v72, v40, v36
	v_sub_f16_e32 v64, v47, v48
	v_sub_f16_e32 v66, v48, v49
	v_add_f16_e32 v48, v48, v49
	v_sub_f16_e32 v67, v50, v51
	v_sub_f16_e32 v68, v51, v52
	;; [unrolled: 1-line block ×6, first 2 shown]
	v_add_f16_e32 v42, v42, v43
	v_sub_f16_e32 v49, v49, v47
	v_sub_f16_e32 v50, v52, v50
	;; [unrolled: 1-line block ×6, first 2 shown]
	v_add_f16_e32 v54, v54, v55
	v_sub_f16_e32 v75, v56, v57
	v_sub_f16_e32 v76, v57, v58
	v_add_f16_e32 v77, v56, v58
	v_sub_f16_e32 v78, v31, v33
	v_sub_f16_e32 v79, v33, v34
	v_add_f16_e32 v80, v31, v34
	v_sub_f16_e32 v81, v35, v37
	v_sub_f16_e32 v82, v37, v38
	v_add_f16_e32 v37, v37, v38
	v_sub_f16_e32 v55, v55, v53
	v_sub_f16_e32 v31, v34, v31
	v_sub_f16_e32 v34, v38, v35
	v_sub_f16_e32 v88, v63, v65
	v_add_f16_e32 v89, v62, v65
	v_sub_f16_e32 v90, v28, v29
	v_sub_f16_e32 v91, v29, v26
	v_add_f16_e32 v92, v28, v26
	v_sub_f16_e32 v94, v30, v32
	v_sub_f16_e32 v26, v26, v28
	;; [unrolled: 1-line block ×3, first 2 shown]
	v_add_f16_e32 v51, v51, v69
	v_add_f16_e32 v41, v41, v72
	v_sub_f16_e32 v56, v58, v56
	v_sub_f16_e32 v38, v59, v60
	v_sub_f16_e32 v58, v60, v61
	v_add_f16_e32 v60, v60, v61
	v_sub_f16_e32 v87, v62, v63
	v_sub_f16_e32 v93, v27, v30
	v_add_f16_e32 v30, v30, v32
	v_sub_f16_e32 v61, v61, v59
	v_sub_f16_e32 v62, v65, v62
	v_mul_f16_e32 v32, 0xb846, v66
	v_add_f16_e32 v47, v47, v48
	v_mul_f16_e32 v48, 0x3a52, v67
	v_mul_f16_e32 v65, 0x2b26, v68
	;; [unrolled: 1-line block ×5, first 2 shown]
	v_add_f16_e32 v39, v39, v42
	v_mul_f16_e32 v42, 0x3b00, v49
	v_mul_f16_e32 v71, 0x3b00, v40
	;; [unrolled: 1-line block ×3, first 2 shown]
	v_add_f16_e32 v53, v53, v54
	v_mul_f16_e32 v54, 0x3a52, v75
	v_mul_f16_e32 v72, 0x2b26, v76
	v_add_f16_e32 v57, v57, v77
	v_mul_f16_e32 v74, 0x3a52, v78
	v_mul_f16_e32 v76, 0x2b26, v79
	v_add_f16_e32 v33, v33, v80
	v_mul_f16_e32 v77, 0xb846, v82
	v_add_f16_e32 v35, v35, v37
	v_mul_f16_e32 v37, 0x3b00, v55
	v_mul_f16_e32 v79, 0x3b00, v34
	;; [unrolled: 1-line block ×3, first 2 shown]
	v_add_f16_e32 v63, v63, v89
	v_mul_f16_e32 v88, 0x2b26, v91
	v_add_f16_e32 v29, v29, v92
	v_mul_f16_e32 v89, 0xb846, v94
	v_mul_f16_e32 v91, 0x3b00, v28
	v_add_f16_e32 v45, v45, v51
	v_add_f16_e32 v25, v25, v41
	v_mul_f16_e32 v58, 0xb846, v58
	v_add_f16_e32 v59, v59, v60
	v_mul_f16_e32 v60, 0x3a52, v87
	v_mul_f16_e32 v82, 0x3a52, v90
	v_add_f16_e32 v27, v27, v30
	v_mul_f16_e32 v30, 0x3b00, v61
	v_fmamk_f16 v92, v64, 0x3574, v32
	v_fmamk_f16 v67, v67, 0x3a52, v65
	;; [unrolled: 1-line block ×4, first 2 shown]
	v_fma_f16 v42, v64, 0xb574, -v42
	v_fma_f16 v48, v50, 0xb9e0, -v48
	v_fma_f16 v64, v36, 0xb9e0, -v66
	v_fma_f16 v66, v73, 0xb574, -v71
	v_fma_f16 v50, v50, 0x39e0, -v65
	v_fma_f16 v32, v49, 0x3b00, -v32
	v_fma_f16 v40, v40, 0x3b00, -v69
	v_fmamk_f16 v49, v43, 0x3574, v52
	v_fmamk_f16 v65, v75, 0x3a52, v72
	v_add_f16_e32 v46, v46, v57
	v_add_f16_e32 v24, v24, v33
	v_fmamk_f16 v69, v81, 0x3574, v77
	v_fma_f16 v37, v43, 0xb574, -v37
	v_fma_f16 v43, v56, 0xb9e0, -v54
	;; [unrolled: 1-line block ×5, first 2 shown]
	v_add_f16_e32 v44, v44, v63
	v_add_f16_e32 v23, v23, v29
	v_fmamk_f16 v74, v93, 0x3574, v89
	v_fma_f16 v75, v93, 0xb574, -v91
	v_fma_f16 v28, v28, 0x3b00, -v89
	v_fmamk_f16 v51, v51, 0xbcab, v45
	v_fmamk_f16 v41, v41, 0xbcab, v25
	v_fma_f16 v36, v36, 0x39e0, -v68
	v_fmamk_f16 v68, v78, 0x3a52, v76
	v_fma_f16 v56, v56, 0x39e0, -v72
	v_fma_f16 v52, v55, 0x3b00, -v52
	;; [unrolled: 1-line block ×3, first 2 shown]
	v_fmamk_f16 v55, v38, 0x3574, v58
	v_fmamk_f16 v72, v87, 0x3a52, v80
	;; [unrolled: 1-line block ×3, first 2 shown]
	v_fma_f16 v30, v38, 0xb574, -v30
	v_fma_f16 v38, v62, 0xb9e0, -v60
	;; [unrolled: 1-line block ×4, first 2 shown]
	v_fmac_f16_e32 v92, 0x370e, v47
	v_fmac_f16_e32 v94, 0x370e, v39
	v_fmac_f16_e32 v66, 0x370e, v39
	v_fmac_f16_e32 v40, 0x370e, v39
	v_pack_b32_f16 v25, v25, v45
	v_fmamk_f16 v39, v57, 0xbcab, v46
	v_fmamk_f16 v33, v33, 0xbcab, v24
	v_fmac_f16_e32 v69, 0x370e, v35
	v_fmac_f16_e32 v71, 0x370e, v35
	;; [unrolled: 1-line block ×3, first 2 shown]
	v_fmamk_f16 v35, v63, 0xbcab, v44
	v_fmamk_f16 v29, v29, 0xbcab, v23
	v_fmac_f16_e32 v74, 0x370e, v27
	v_fmac_f16_e32 v75, 0x370e, v27
	;; [unrolled: 1-line block ×3, first 2 shown]
	v_add_f16_e32 v27, v67, v51
	v_add_f16_e32 v45, v70, v41
	v_fma_f16 v58, v61, 0x3b00, -v58
	v_fmac_f16_e32 v42, 0x370e, v47
	v_fmac_f16_e32 v32, 0x370e, v47
	v_add_f16_e32 v47, v48, v51
	v_add_f16_e32 v48, v64, v41
	;; [unrolled: 1-line block ×3, first 2 shown]
	v_fma_f16 v62, v62, 0x39e0, -v80
	v_add_f16_e32 v50, v50, v51
	v_fmac_f16_e32 v49, 0x370e, v53
	v_fmac_f16_e32 v37, 0x370e, v53
	;; [unrolled: 1-line block ×5, first 2 shown]
	global_store_dword v[2:3], v25, off
	v_pack_b32_f16 v23, v23, v44
	v_pack_b32_f16 v24, v24, v46
	v_add_f16_e32 v25, v65, v39
	v_add_f16_e32 v41, v68, v33
	;; [unrolled: 1-line block ×12, first 2 shown]
	v_sub_f16_e32 v53, v45, v94
	v_sub_f16_e32 v27, v27, v92
	v_add_f16_e32 v45, v94, v45
	v_fmac_f16_e32 v58, 0x370e, v59
	v_add_f16_e32 v54, v42, v47
	v_add_f16_e32 v59, v40, v36
	v_sub_f16_e32 v36, v36, v40
	v_sub_f16_e32 v40, v47, v42
	v_add_f16_e32 v42, v66, v48
	v_add_f16_e32 v35, v62, v35
	v_sub_f16_e32 v57, v50, v32
	v_add_f16_e32 v32, v32, v50
	v_sub_f16_e32 v56, v48, v66
	global_store_dword v[2:3], v23, off offset:252
	v_sub_f16_e32 v48, v41, v69
	v_add_f16_e32 v50, v37, v43
	v_sub_f16_e32 v60, v44, v71
	v_sub_f16_e32 v61, v39, v52
	v_add_f16_e32 v62, v34, v31
	v_add_f16_e32 v23, v52, v39
	v_sub_f16_e32 v31, v31, v34
	v_sub_f16_e32 v34, v43, v37
	v_add_f16_e32 v37, v71, v44
	v_add_f16_e32 v39, v69, v41
	;; [unrolled: 1-line block ×5, first 2 shown]
	v_sub_f16_e32 v26, v26, v28
	v_sub_f16_e32 v28, v38, v30
	v_sub_f16_e32 v33, v33, v55
	v_add_f16_e32 v38, v74, v46
	v_pack_b32_f16 v27, v45, v27
	v_add_f16_e32 v30, v75, v51
	v_pack_b32_f16 v40, v42, v40
	v_sub_f16_e32 v52, v35, v58
	v_add_f16_e32 v35, v58, v35
	v_pack_b32_f16 v32, v36, v32
	v_pack_b32_f16 v36, v59, v57
	v_add_f16_e32 v47, v49, v25
	v_sub_f16_e32 v25, v25, v49
	v_sub_f16_e32 v49, v51, v75
	v_pack_b32_f16 v42, v56, v54
	v_sub_f16_e32 v43, v46, v74
	v_pack_b32_f16 v29, v53, v29
	global_store_dword v[2:3], v27, off offset:972
	global_store_dword v[2:3], v40, off offset:1944
	;; [unrolled: 1-line block ×6, first 2 shown]
	v_pack_b32_f16 v27, v38, v33
	v_pack_b32_f16 v28, v30, v28
	;; [unrolled: 1-line block ×7, first 2 shown]
	global_store_dword v[2:3], v27, off offset:1224
	global_store_dword v[4:5], v28, off offset:148
	;; [unrolled: 1-line block ×8, first 2 shown]
	v_pack_b32_f16 v29, v31, v23
	v_add_co_u32 v23, vcc_lo, 0x800, v83
	v_add_co_ci_u32_e32 v24, vcc_lo, 0, v84, vcc_lo
	v_add_co_u32 v25, vcc_lo, 0x1000, v83
	v_pack_b32_f16 v33, v37, v34
	v_add_co_ci_u32_e32 v26, vcc_lo, 0, v84, vcc_lo
	v_pack_b32_f16 v30, v62, v61
	v_add_co_u32 v27, vcc_lo, 0x1800, v83
	v_pack_b32_f16 v31, v60, v50
	v_pack_b32_f16 v32, v48, v47
	v_add_co_ci_u32_e32 v28, vcc_lo, 0, v84, vcc_lo
	global_store_dword v[85:86], v33, off offset:1944
	global_store_dword v[23:24], v29, off offset:1372
	;; [unrolled: 1-line block ×5, first 2 shown]
	s_and_b32 exec_lo, exec_lo, s0
	s_cbranch_execz .LBB0_18
; %bb.17:
	v_subrev_nc_u32_e32 v0, 54, v0
	v_cndmask_b32_e64 v0, v0, v8, s0
	v_mul_i32_i24_e32 v0, 6, v0
	v_lshlrev_b64 v[0:1], 2, v[0:1]
	v_add_co_u32 v0, vcc_lo, s8, v0
	v_add_co_ci_u32_e32 v1, vcc_lo, s9, v1, vcc_lo
	v_add_co_u32 v27, vcc_lo, 0x1800, v2
	v_add_co_ci_u32_e32 v28, vcc_lo, 0, v3, vcc_lo
	s_clause 0x1
	global_load_dwordx4 v[23:26], v[0:1], off offset:960
	global_load_dwordx2 v[0:1], v[0:1], off offset:976
	s_waitcnt vmcnt(1)
	v_mul_f16_sdwa v8, v20, v23 dst_sel:DWORD dst_unused:UNUSED_PAD src0_sel:DWORD src1_sel:WORD_1
	v_mul_f16_sdwa v29, v11, v23 dst_sel:DWORD dst_unused:UNUSED_PAD src0_sel:DWORD src1_sel:WORD_1
	v_mul_f16_sdwa v30, v12, v24 dst_sel:DWORD dst_unused:UNUSED_PAD src0_sel:DWORD src1_sel:WORD_1
	v_mul_f16_sdwa v31, v18, v24 dst_sel:DWORD dst_unused:UNUSED_PAD src0_sel:DWORD src1_sel:WORD_1
	v_mul_f16_sdwa v32, v21, v25 dst_sel:DWORD dst_unused:UNUSED_PAD src0_sel:DWORD src1_sel:WORD_1
	s_waitcnt vmcnt(0)
	v_mul_f16_sdwa v36, v9, v0 dst_sel:DWORD dst_unused:UNUSED_PAD src0_sel:DWORD src1_sel:WORD_1
	v_mul_f16_sdwa v37, v19, v0 dst_sel:DWORD dst_unused:UNUSED_PAD src0_sel:DWORD src1_sel:WORD_1
	;; [unrolled: 1-line block ×7, first 2 shown]
	v_fma_f16 v8, v11, v23, -v8
	v_fmac_f16_e32 v29, v20, v23
	v_fma_f16 v11, v18, v24, -v30
	v_fmac_f16_e32 v31, v12, v24
	v_fma_f16 v12, v14, v25, -v32
	v_fma_f16 v14, v15, v1, -v38
	v_fmac_f16_e32 v39, v22, v1
	v_fma_f16 v1, v19, v0, -v36
	v_fmac_f16_e32 v37, v9, v0
	v_fmac_f16_e32 v33, v21, v25
	v_fma_f16 v10, v10, v26, -v34
	v_fmac_f16_e32 v35, v17, v26
	v_add_f16_e32 v0, v8, v14
	v_add_f16_e32 v9, v29, v39
	;; [unrolled: 1-line block ×4, first 2 shown]
	v_sub_f16_e32 v8, v8, v14
	v_sub_f16_e32 v14, v29, v39
	;; [unrolled: 1-line block ×4, first 2 shown]
	v_add_f16_e32 v18, v12, v10
	v_add_f16_e32 v19, v33, v35
	v_sub_f16_e32 v10, v10, v12
	v_sub_f16_e32 v12, v35, v33
	v_add_f16_e32 v20, v15, v0
	v_add_f16_e32 v21, v17, v9
	v_sub_f16_e32 v22, v15, v0
	v_sub_f16_e32 v23, v17, v9
	;; [unrolled: 1-line block ×6, first 2 shown]
	v_add_f16_e32 v24, v10, v1
	v_add_f16_e32 v25, v12, v11
	v_sub_f16_e32 v26, v10, v1
	v_sub_f16_e32 v29, v12, v11
	;; [unrolled: 1-line block ×4, first 2 shown]
	v_add_f16_e32 v18, v18, v20
	v_add_f16_e32 v19, v19, v21
	v_sub_f16_e32 v10, v8, v10
	v_sub_f16_e32 v12, v14, v12
	v_add_f16_e32 v8, v24, v8
	v_add_f16_e32 v14, v25, v14
	v_mul_f16_e32 v0, 0x3a52, v0
	v_mul_f16_e32 v9, 0x3a52, v9
	;; [unrolled: 1-line block ×8, first 2 shown]
	v_add_f16_e32 v13, v13, v18
	v_add_f16_e32 v16, v16, v19
	v_fmamk_f16 v15, v15, 0x2b26, v0
	v_fmamk_f16 v17, v17, 0x2b26, v9
	v_fma_f16 v20, v22, 0x39e0, -v20
	v_fma_f16 v21, v23, 0x39e0, -v21
	;; [unrolled: 1-line block ×4, first 2 shown]
	v_fmamk_f16 v22, v10, 0x3574, v24
	v_fmamk_f16 v23, v12, 0x3574, v25
	v_fma_f16 v1, v1, 0x3b00, -v24
	v_fma_f16 v11, v11, 0x3b00, -v25
	;; [unrolled: 1-line block ×4, first 2 shown]
	v_fmamk_f16 v18, v18, 0xbcab, v13
	v_fmamk_f16 v19, v19, 0xbcab, v16
	v_fmac_f16_e32 v22, 0x370e, v8
	v_fmac_f16_e32 v23, 0x370e, v14
	;; [unrolled: 1-line block ×6, first 2 shown]
	v_pack_b32_f16 v8, v13, v16
	v_add_f16_e32 v13, v15, v18
	v_add_f16_e32 v14, v17, v19
	;; [unrolled: 1-line block ×6, first 2 shown]
	global_store_dword v[2:3], v8, off offset:756
	v_add_f16_e32 v8, v23, v13
	v_sub_f16_e32 v17, v14, v22
	v_add_f16_e32 v18, v12, v0
	v_sub_f16_e32 v19, v9, v10
	v_sub_f16_e32 v20, v15, v11
	v_add_f16_e32 v21, v1, v16
	v_add_f16_e32 v11, v11, v15
	v_sub_f16_e32 v1, v16, v1
	v_sub_f16_e32 v0, v0, v12
	v_add_f16_e32 v9, v10, v9
	v_sub_f16_e32 v10, v13, v23
	v_add_f16_e32 v12, v22, v14
	v_pack_b32_f16 v8, v8, v17
	v_pack_b32_f16 v13, v18, v19
	;; [unrolled: 1-line block ×6, first 2 shown]
	global_store_dword v[2:3], v8, off offset:1728
	global_store_dword v[4:5], v13, off offset:652
	;; [unrolled: 1-line block ×6, first 2 shown]
.LBB0_18:
	s_endpgm
	.section	.rodata,"a",@progbits
	.p2align	6, 0x0
	.amdhsa_kernel fft_rtc_fwd_len1701_factors_3_3_3_3_3_7_wgs_63_tpt_63_halfLds_half_ip_CI_unitstride_sbrr_dirReg
		.amdhsa_group_segment_fixed_size 0
		.amdhsa_private_segment_fixed_size 0
		.amdhsa_kernarg_size 88
		.amdhsa_user_sgpr_count 6
		.amdhsa_user_sgpr_private_segment_buffer 1
		.amdhsa_user_sgpr_dispatch_ptr 0
		.amdhsa_user_sgpr_queue_ptr 0
		.amdhsa_user_sgpr_kernarg_segment_ptr 1
		.amdhsa_user_sgpr_dispatch_id 0
		.amdhsa_user_sgpr_flat_scratch_init 0
		.amdhsa_user_sgpr_private_segment_size 0
		.amdhsa_wavefront_size32 1
		.amdhsa_uses_dynamic_stack 0
		.amdhsa_system_sgpr_private_segment_wavefront_offset 0
		.amdhsa_system_sgpr_workgroup_id_x 1
		.amdhsa_system_sgpr_workgroup_id_y 0
		.amdhsa_system_sgpr_workgroup_id_z 0
		.amdhsa_system_sgpr_workgroup_info 0
		.amdhsa_system_vgpr_workitem_id 0
		.amdhsa_next_free_vgpr 116
		.amdhsa_next_free_sgpr 21
		.amdhsa_reserve_vcc 1
		.amdhsa_reserve_flat_scratch 0
		.amdhsa_float_round_mode_32 0
		.amdhsa_float_round_mode_16_64 0
		.amdhsa_float_denorm_mode_32 3
		.amdhsa_float_denorm_mode_16_64 3
		.amdhsa_dx10_clamp 1
		.amdhsa_ieee_mode 1
		.amdhsa_fp16_overflow 0
		.amdhsa_workgroup_processor_mode 1
		.amdhsa_memory_ordered 1
		.amdhsa_forward_progress 0
		.amdhsa_shared_vgpr_count 0
		.amdhsa_exception_fp_ieee_invalid_op 0
		.amdhsa_exception_fp_denorm_src 0
		.amdhsa_exception_fp_ieee_div_zero 0
		.amdhsa_exception_fp_ieee_overflow 0
		.amdhsa_exception_fp_ieee_underflow 0
		.amdhsa_exception_fp_ieee_inexact 0
		.amdhsa_exception_int_div_zero 0
	.end_amdhsa_kernel
	.text
.Lfunc_end0:
	.size	fft_rtc_fwd_len1701_factors_3_3_3_3_3_7_wgs_63_tpt_63_halfLds_half_ip_CI_unitstride_sbrr_dirReg, .Lfunc_end0-fft_rtc_fwd_len1701_factors_3_3_3_3_3_7_wgs_63_tpt_63_halfLds_half_ip_CI_unitstride_sbrr_dirReg
                                        ; -- End function
	.section	.AMDGPU.csdata,"",@progbits
; Kernel info:
; codeLenInByte = 18052
; NumSgprs: 23
; NumVgprs: 116
; ScratchSize: 0
; MemoryBound: 0
; FloatMode: 240
; IeeeMode: 1
; LDSByteSize: 0 bytes/workgroup (compile time only)
; SGPRBlocks: 2
; VGPRBlocks: 14
; NumSGPRsForWavesPerEU: 23
; NumVGPRsForWavesPerEU: 116
; Occupancy: 8
; WaveLimiterHint : 1
; COMPUTE_PGM_RSRC2:SCRATCH_EN: 0
; COMPUTE_PGM_RSRC2:USER_SGPR: 6
; COMPUTE_PGM_RSRC2:TRAP_HANDLER: 0
; COMPUTE_PGM_RSRC2:TGID_X_EN: 1
; COMPUTE_PGM_RSRC2:TGID_Y_EN: 0
; COMPUTE_PGM_RSRC2:TGID_Z_EN: 0
; COMPUTE_PGM_RSRC2:TIDIG_COMP_CNT: 0
	.text
	.p2alignl 6, 3214868480
	.fill 48, 4, 3214868480
	.type	__hip_cuid_ea3826548cb9b0b,@object ; @__hip_cuid_ea3826548cb9b0b
	.section	.bss,"aw",@nobits
	.globl	__hip_cuid_ea3826548cb9b0b
__hip_cuid_ea3826548cb9b0b:
	.byte	0                               ; 0x0
	.size	__hip_cuid_ea3826548cb9b0b, 1

	.ident	"AMD clang version 19.0.0git (https://github.com/RadeonOpenCompute/llvm-project roc-6.4.0 25133 c7fe45cf4b819c5991fe208aaa96edf142730f1d)"
	.section	".note.GNU-stack","",@progbits
	.addrsig
	.addrsig_sym __hip_cuid_ea3826548cb9b0b
	.amdgpu_metadata
---
amdhsa.kernels:
  - .args:
      - .actual_access:  read_only
        .address_space:  global
        .offset:         0
        .size:           8
        .value_kind:     global_buffer
      - .offset:         8
        .size:           8
        .value_kind:     by_value
      - .actual_access:  read_only
        .address_space:  global
        .offset:         16
        .size:           8
        .value_kind:     global_buffer
      - .actual_access:  read_only
        .address_space:  global
        .offset:         24
        .size:           8
        .value_kind:     global_buffer
      - .offset:         32
        .size:           8
        .value_kind:     by_value
      - .actual_access:  read_only
        .address_space:  global
        .offset:         40
        .size:           8
        .value_kind:     global_buffer
      - .actual_access:  read_only
        .address_space:  global
        .offset:         48
        .size:           8
        .value_kind:     global_buffer
      - .offset:         56
        .size:           4
        .value_kind:     by_value
      - .actual_access:  read_only
        .address_space:  global
        .offset:         64
        .size:           8
        .value_kind:     global_buffer
      - .actual_access:  read_only
        .address_space:  global
        .offset:         72
        .size:           8
        .value_kind:     global_buffer
      - .address_space:  global
        .offset:         80
        .size:           8
        .value_kind:     global_buffer
    .group_segment_fixed_size: 0
    .kernarg_segment_align: 8
    .kernarg_segment_size: 88
    .language:       OpenCL C
    .language_version:
      - 2
      - 0
    .max_flat_workgroup_size: 63
    .name:           fft_rtc_fwd_len1701_factors_3_3_3_3_3_7_wgs_63_tpt_63_halfLds_half_ip_CI_unitstride_sbrr_dirReg
    .private_segment_fixed_size: 0
    .sgpr_count:     23
    .sgpr_spill_count: 0
    .symbol:         fft_rtc_fwd_len1701_factors_3_3_3_3_3_7_wgs_63_tpt_63_halfLds_half_ip_CI_unitstride_sbrr_dirReg.kd
    .uniform_work_group_size: 1
    .uses_dynamic_stack: false
    .vgpr_count:     116
    .vgpr_spill_count: 0
    .wavefront_size: 32
    .workgroup_processor_mode: 1
amdhsa.target:   amdgcn-amd-amdhsa--gfx1030
amdhsa.version:
  - 1
  - 2
...

	.end_amdgpu_metadata
